;; amdgpu-corpus repo=ROCm/rocFFT kind=compiled arch=gfx1100 opt=O3
	.text
	.amdgcn_target "amdgcn-amd-amdhsa--gfx1100"
	.amdhsa_code_object_version 6
	.protected	fft_rtc_fwd_len850_factors_10_5_17_wgs_85_tpt_85_dp_op_CI_CI_unitstride_sbrr_C2R_dirReg ; -- Begin function fft_rtc_fwd_len850_factors_10_5_17_wgs_85_tpt_85_dp_op_CI_CI_unitstride_sbrr_C2R_dirReg
	.globl	fft_rtc_fwd_len850_factors_10_5_17_wgs_85_tpt_85_dp_op_CI_CI_unitstride_sbrr_C2R_dirReg
	.p2align	8
	.type	fft_rtc_fwd_len850_factors_10_5_17_wgs_85_tpt_85_dp_op_CI_CI_unitstride_sbrr_C2R_dirReg,@function
fft_rtc_fwd_len850_factors_10_5_17_wgs_85_tpt_85_dp_op_CI_CI_unitstride_sbrr_C2R_dirReg: ; @fft_rtc_fwd_len850_factors_10_5_17_wgs_85_tpt_85_dp_op_CI_CI_unitstride_sbrr_C2R_dirReg
; %bb.0:
	s_clause 0x2
	s_load_b128 s[8:11], s[0:1], 0x0
	s_load_b128 s[4:7], s[0:1], 0x58
	;; [unrolled: 1-line block ×3, first 2 shown]
	v_mul_u32_u24_e32 v1, 0x304, v0
	v_mov_b32_e32 v3, 0
	s_delay_alu instid0(VALU_DEP_2) | instskip(NEXT) | instid1(VALU_DEP_1)
	v_lshrrev_b32_e32 v1, 16, v1
	v_add_nc_u32_e32 v5, s15, v1
	v_mov_b32_e32 v1, 0
	v_mov_b32_e32 v2, 0
	;; [unrolled: 1-line block ×3, first 2 shown]
	s_waitcnt lgkmcnt(0)
	v_cmp_lt_u64_e64 s2, s[10:11], 2
	s_delay_alu instid0(VALU_DEP_1)
	s_and_b32 vcc_lo, exec_lo, s2
	s_cbranch_vccnz .LBB0_8
; %bb.1:
	s_load_b64 s[2:3], s[0:1], 0x10
	v_mov_b32_e32 v1, 0
	v_mov_b32_e32 v2, 0
	s_add_u32 s12, s18, 8
	s_addc_u32 s13, s19, 0
	s_add_u32 s14, s16, 8
	s_addc_u32 s15, s17, 0
	v_dual_mov_b32 v69, v2 :: v_dual_mov_b32 v68, v1
	s_mov_b64 s[22:23], 1
	s_waitcnt lgkmcnt(0)
	s_add_u32 s20, s2, 8
	s_addc_u32 s21, s3, 0
.LBB0_2:                                ; =>This Inner Loop Header: Depth=1
	s_load_b64 s[24:25], s[20:21], 0x0
                                        ; implicit-def: $vgpr70_vgpr71
	s_mov_b32 s2, exec_lo
	s_waitcnt lgkmcnt(0)
	v_or_b32_e32 v4, s25, v6
	s_delay_alu instid0(VALU_DEP_1)
	v_cmpx_ne_u64_e32 0, v[3:4]
	s_xor_b32 s3, exec_lo, s2
	s_cbranch_execz .LBB0_4
; %bb.3:                                ;   in Loop: Header=BB0_2 Depth=1
	v_cvt_f32_u32_e32 v4, s24
	v_cvt_f32_u32_e32 v7, s25
	s_sub_u32 s2, 0, s24
	s_subb_u32 s26, 0, s25
	s_delay_alu instid0(VALU_DEP_1) | instskip(NEXT) | instid1(VALU_DEP_1)
	v_fmac_f32_e32 v4, 0x4f800000, v7
	v_rcp_f32_e32 v4, v4
	s_waitcnt_depctr 0xfff
	v_mul_f32_e32 v4, 0x5f7ffffc, v4
	s_delay_alu instid0(VALU_DEP_1) | instskip(NEXT) | instid1(VALU_DEP_1)
	v_mul_f32_e32 v7, 0x2f800000, v4
	v_trunc_f32_e32 v7, v7
	s_delay_alu instid0(VALU_DEP_1) | instskip(SKIP_1) | instid1(VALU_DEP_2)
	v_fmac_f32_e32 v4, 0xcf800000, v7
	v_cvt_u32_f32_e32 v7, v7
	v_cvt_u32_f32_e32 v4, v4
	s_delay_alu instid0(VALU_DEP_2) | instskip(NEXT) | instid1(VALU_DEP_2)
	v_mul_lo_u32 v8, s2, v7
	v_mul_hi_u32 v9, s2, v4
	v_mul_lo_u32 v10, s26, v4
	s_delay_alu instid0(VALU_DEP_2) | instskip(SKIP_1) | instid1(VALU_DEP_2)
	v_add_nc_u32_e32 v8, v9, v8
	v_mul_lo_u32 v9, s2, v4
	v_add_nc_u32_e32 v8, v8, v10
	s_delay_alu instid0(VALU_DEP_2) | instskip(NEXT) | instid1(VALU_DEP_2)
	v_mul_hi_u32 v10, v4, v9
	v_mul_lo_u32 v11, v4, v8
	v_mul_hi_u32 v12, v4, v8
	v_mul_hi_u32 v13, v7, v9
	v_mul_lo_u32 v9, v7, v9
	v_mul_hi_u32 v14, v7, v8
	v_mul_lo_u32 v8, v7, v8
	v_add_co_u32 v10, vcc_lo, v10, v11
	v_add_co_ci_u32_e32 v11, vcc_lo, 0, v12, vcc_lo
	s_delay_alu instid0(VALU_DEP_2) | instskip(NEXT) | instid1(VALU_DEP_2)
	v_add_co_u32 v9, vcc_lo, v10, v9
	v_add_co_ci_u32_e32 v9, vcc_lo, v11, v13, vcc_lo
	v_add_co_ci_u32_e32 v10, vcc_lo, 0, v14, vcc_lo
	s_delay_alu instid0(VALU_DEP_2) | instskip(NEXT) | instid1(VALU_DEP_2)
	v_add_co_u32 v8, vcc_lo, v9, v8
	v_add_co_ci_u32_e32 v9, vcc_lo, 0, v10, vcc_lo
	s_delay_alu instid0(VALU_DEP_2) | instskip(NEXT) | instid1(VALU_DEP_2)
	v_add_co_u32 v4, vcc_lo, v4, v8
	v_add_co_ci_u32_e32 v7, vcc_lo, v7, v9, vcc_lo
	s_delay_alu instid0(VALU_DEP_2) | instskip(SKIP_1) | instid1(VALU_DEP_3)
	v_mul_hi_u32 v8, s2, v4
	v_mul_lo_u32 v10, s26, v4
	v_mul_lo_u32 v9, s2, v7
	s_delay_alu instid0(VALU_DEP_1) | instskip(SKIP_1) | instid1(VALU_DEP_2)
	v_add_nc_u32_e32 v8, v8, v9
	v_mul_lo_u32 v9, s2, v4
	v_add_nc_u32_e32 v8, v8, v10
	s_delay_alu instid0(VALU_DEP_2) | instskip(NEXT) | instid1(VALU_DEP_2)
	v_mul_hi_u32 v10, v4, v9
	v_mul_lo_u32 v11, v4, v8
	v_mul_hi_u32 v12, v4, v8
	v_mul_hi_u32 v13, v7, v9
	v_mul_lo_u32 v9, v7, v9
	v_mul_hi_u32 v14, v7, v8
	v_mul_lo_u32 v8, v7, v8
	v_add_co_u32 v10, vcc_lo, v10, v11
	v_add_co_ci_u32_e32 v11, vcc_lo, 0, v12, vcc_lo
	s_delay_alu instid0(VALU_DEP_2) | instskip(NEXT) | instid1(VALU_DEP_2)
	v_add_co_u32 v9, vcc_lo, v10, v9
	v_add_co_ci_u32_e32 v9, vcc_lo, v11, v13, vcc_lo
	v_add_co_ci_u32_e32 v10, vcc_lo, 0, v14, vcc_lo
	s_delay_alu instid0(VALU_DEP_2) | instskip(NEXT) | instid1(VALU_DEP_2)
	v_add_co_u32 v8, vcc_lo, v9, v8
	v_add_co_ci_u32_e32 v9, vcc_lo, 0, v10, vcc_lo
	s_delay_alu instid0(VALU_DEP_2) | instskip(NEXT) | instid1(VALU_DEP_2)
	v_add_co_u32 v4, vcc_lo, v4, v8
	v_add_co_ci_u32_e32 v13, vcc_lo, v7, v9, vcc_lo
	s_delay_alu instid0(VALU_DEP_2) | instskip(SKIP_1) | instid1(VALU_DEP_3)
	v_mul_hi_u32 v14, v5, v4
	v_mad_u64_u32 v[9:10], null, v6, v4, 0
	v_mad_u64_u32 v[7:8], null, v5, v13, 0
	;; [unrolled: 1-line block ×3, first 2 shown]
	s_delay_alu instid0(VALU_DEP_2) | instskip(NEXT) | instid1(VALU_DEP_3)
	v_add_co_u32 v4, vcc_lo, v14, v7
	v_add_co_ci_u32_e32 v7, vcc_lo, 0, v8, vcc_lo
	s_delay_alu instid0(VALU_DEP_2) | instskip(NEXT) | instid1(VALU_DEP_2)
	v_add_co_u32 v4, vcc_lo, v4, v9
	v_add_co_ci_u32_e32 v4, vcc_lo, v7, v10, vcc_lo
	v_add_co_ci_u32_e32 v7, vcc_lo, 0, v12, vcc_lo
	s_delay_alu instid0(VALU_DEP_2) | instskip(NEXT) | instid1(VALU_DEP_2)
	v_add_co_u32 v4, vcc_lo, v4, v11
	v_add_co_ci_u32_e32 v9, vcc_lo, 0, v7, vcc_lo
	s_delay_alu instid0(VALU_DEP_2) | instskip(SKIP_1) | instid1(VALU_DEP_3)
	v_mul_lo_u32 v10, s25, v4
	v_mad_u64_u32 v[7:8], null, s24, v4, 0
	v_mul_lo_u32 v11, s24, v9
	s_delay_alu instid0(VALU_DEP_2) | instskip(NEXT) | instid1(VALU_DEP_2)
	v_sub_co_u32 v7, vcc_lo, v5, v7
	v_add3_u32 v8, v8, v11, v10
	s_delay_alu instid0(VALU_DEP_1) | instskip(NEXT) | instid1(VALU_DEP_1)
	v_sub_nc_u32_e32 v10, v6, v8
	v_subrev_co_ci_u32_e64 v10, s2, s25, v10, vcc_lo
	v_add_co_u32 v11, s2, v4, 2
	s_delay_alu instid0(VALU_DEP_1) | instskip(SKIP_3) | instid1(VALU_DEP_3)
	v_add_co_ci_u32_e64 v12, s2, 0, v9, s2
	v_sub_co_u32 v13, s2, v7, s24
	v_sub_co_ci_u32_e32 v8, vcc_lo, v6, v8, vcc_lo
	v_subrev_co_ci_u32_e64 v10, s2, 0, v10, s2
	v_cmp_le_u32_e32 vcc_lo, s24, v13
	s_delay_alu instid0(VALU_DEP_3) | instskip(SKIP_1) | instid1(VALU_DEP_4)
	v_cmp_eq_u32_e64 s2, s25, v8
	v_cndmask_b32_e64 v13, 0, -1, vcc_lo
	v_cmp_le_u32_e32 vcc_lo, s25, v10
	v_cndmask_b32_e64 v14, 0, -1, vcc_lo
	v_cmp_le_u32_e32 vcc_lo, s24, v7
	;; [unrolled: 2-line block ×3, first 2 shown]
	v_cndmask_b32_e64 v15, 0, -1, vcc_lo
	v_cmp_eq_u32_e32 vcc_lo, s25, v10
	s_delay_alu instid0(VALU_DEP_2) | instskip(SKIP_3) | instid1(VALU_DEP_3)
	v_cndmask_b32_e64 v7, v15, v7, s2
	v_cndmask_b32_e32 v10, v14, v13, vcc_lo
	v_add_co_u32 v13, vcc_lo, v4, 1
	v_add_co_ci_u32_e32 v14, vcc_lo, 0, v9, vcc_lo
	v_cmp_ne_u32_e32 vcc_lo, 0, v10
	s_delay_alu instid0(VALU_DEP_2) | instskip(NEXT) | instid1(VALU_DEP_4)
	v_cndmask_b32_e32 v8, v14, v12, vcc_lo
	v_cndmask_b32_e32 v10, v13, v11, vcc_lo
	v_cmp_ne_u32_e32 vcc_lo, 0, v7
	s_delay_alu instid0(VALU_DEP_2)
	v_dual_cndmask_b32 v71, v9, v8 :: v_dual_cndmask_b32 v70, v4, v10
.LBB0_4:                                ;   in Loop: Header=BB0_2 Depth=1
	s_and_not1_saveexec_b32 s2, s3
	s_cbranch_execz .LBB0_6
; %bb.5:                                ;   in Loop: Header=BB0_2 Depth=1
	v_cvt_f32_u32_e32 v4, s24
	s_sub_i32 s3, 0, s24
	v_mov_b32_e32 v71, v3
	s_delay_alu instid0(VALU_DEP_2) | instskip(SKIP_2) | instid1(VALU_DEP_1)
	v_rcp_iflag_f32_e32 v4, v4
	s_waitcnt_depctr 0xfff
	v_mul_f32_e32 v4, 0x4f7ffffe, v4
	v_cvt_u32_f32_e32 v4, v4
	s_delay_alu instid0(VALU_DEP_1) | instskip(NEXT) | instid1(VALU_DEP_1)
	v_mul_lo_u32 v7, s3, v4
	v_mul_hi_u32 v7, v4, v7
	s_delay_alu instid0(VALU_DEP_1) | instskip(NEXT) | instid1(VALU_DEP_1)
	v_add_nc_u32_e32 v4, v4, v7
	v_mul_hi_u32 v4, v5, v4
	s_delay_alu instid0(VALU_DEP_1) | instskip(SKIP_1) | instid1(VALU_DEP_2)
	v_mul_lo_u32 v7, v4, s24
	v_add_nc_u32_e32 v8, 1, v4
	v_sub_nc_u32_e32 v7, v5, v7
	s_delay_alu instid0(VALU_DEP_1) | instskip(SKIP_1) | instid1(VALU_DEP_2)
	v_subrev_nc_u32_e32 v9, s24, v7
	v_cmp_le_u32_e32 vcc_lo, s24, v7
	v_dual_cndmask_b32 v7, v7, v9 :: v_dual_cndmask_b32 v4, v4, v8
	s_delay_alu instid0(VALU_DEP_1) | instskip(NEXT) | instid1(VALU_DEP_2)
	v_cmp_le_u32_e32 vcc_lo, s24, v7
	v_add_nc_u32_e32 v8, 1, v4
	s_delay_alu instid0(VALU_DEP_1)
	v_cndmask_b32_e32 v70, v4, v8, vcc_lo
.LBB0_6:                                ;   in Loop: Header=BB0_2 Depth=1
	s_or_b32 exec_lo, exec_lo, s2
	s_delay_alu instid0(VALU_DEP_1) | instskip(NEXT) | instid1(VALU_DEP_2)
	v_mul_lo_u32 v4, v71, s24
	v_mul_lo_u32 v9, v70, s25
	s_load_b64 s[2:3], s[14:15], 0x0
	v_mad_u64_u32 v[7:8], null, v70, s24, 0
	s_load_b64 s[24:25], s[12:13], 0x0
	s_add_u32 s22, s22, 1
	s_addc_u32 s23, s23, 0
	s_add_u32 s12, s12, 8
	s_addc_u32 s13, s13, 0
	s_add_u32 s14, s14, 8
	s_delay_alu instid0(VALU_DEP_1) | instskip(SKIP_3) | instid1(VALU_DEP_2)
	v_add3_u32 v4, v8, v9, v4
	v_sub_co_u32 v8, vcc_lo, v5, v7
	s_addc_u32 s15, s15, 0
	s_add_u32 s20, s20, 8
	v_sub_co_ci_u32_e32 v6, vcc_lo, v6, v4, vcc_lo
	s_addc_u32 s21, s21, 0
	s_waitcnt lgkmcnt(0)
	s_delay_alu instid0(VALU_DEP_1)
	v_mul_lo_u32 v9, s2, v6
	v_mul_lo_u32 v10, s3, v8
	v_mad_u64_u32 v[4:5], null, s2, v8, v[1:2]
	v_mul_lo_u32 v11, s24, v6
	v_mul_lo_u32 v12, s25, v8
	v_mad_u64_u32 v[6:7], null, s24, v8, v[68:69]
	v_cmp_ge_u64_e64 s2, s[22:23], s[10:11]
	v_add3_u32 v2, v10, v5, v9
	s_delay_alu instid0(VALU_DEP_3) | instskip(NEXT) | instid1(VALU_DEP_4)
	v_dual_mov_b32 v1, v4 :: v_dual_mov_b32 v68, v6
	v_add3_u32 v69, v12, v7, v11
	s_delay_alu instid0(VALU_DEP_4)
	s_and_b32 vcc_lo, exec_lo, s2
	s_cbranch_vccnz .LBB0_9
; %bb.7:                                ;   in Loop: Header=BB0_2 Depth=1
	v_dual_mov_b32 v5, v70 :: v_dual_mov_b32 v6, v71
	s_branch .LBB0_2
.LBB0_8:
	v_dual_mov_b32 v69, v2 :: v_dual_mov_b32 v68, v1
	v_dual_mov_b32 v71, v6 :: v_dual_mov_b32 v70, v5
.LBB0_9:
	s_load_b64 s[0:1], s[0:1], 0x28
	v_mul_hi_u32 v3, 0x3030304, v0
	s_lshl_b64 s[10:11], s[10:11], 3
                                        ; implicit-def: $vgpr72
	s_delay_alu instid0(SALU_CYCLE_1) | instskip(SKIP_4) | instid1(VALU_DEP_1)
	s_add_u32 s2, s18, s10
	s_addc_u32 s3, s19, s11
	s_waitcnt lgkmcnt(0)
	v_cmp_gt_u64_e32 vcc_lo, s[0:1], v[70:71]
	v_cmp_le_u64_e64 s0, s[0:1], v[70:71]
	s_and_saveexec_b32 s1, s0
	s_delay_alu instid0(SALU_CYCLE_1)
	s_xor_b32 s0, exec_lo, s1
; %bb.10:
	v_mul_u32_u24_e32 v1, 0x55, v3
                                        ; implicit-def: $vgpr3
	s_delay_alu instid0(VALU_DEP_1)
	v_sub_nc_u32_e32 v72, v0, v1
                                        ; implicit-def: $vgpr0
                                        ; implicit-def: $vgpr1_vgpr2
; %bb.11:
	s_or_saveexec_b32 s1, s0
	s_load_b64 s[2:3], s[2:3], 0x0
	s_xor_b32 exec_lo, exec_lo, s1
	s_cbranch_execz .LBB0_15
; %bb.12:
	s_add_u32 s10, s16, s10
	s_addc_u32 s11, s17, s11
	v_lshlrev_b64 v[1:2], 4, v[1:2]
	s_load_b64 s[10:11], s[10:11], 0x0
	s_waitcnt lgkmcnt(0)
	v_mul_lo_u32 v6, s11, v70
	v_mul_lo_u32 v7, s10, v71
	v_mad_u64_u32 v[4:5], null, s10, v70, 0
	s_delay_alu instid0(VALU_DEP_1) | instskip(SKIP_1) | instid1(VALU_DEP_2)
	v_add3_u32 v5, v5, v7, v6
	v_mul_u32_u24_e32 v6, 0x55, v3
	v_lshlrev_b64 v[3:4], 4, v[4:5]
	s_delay_alu instid0(VALU_DEP_2) | instskip(NEXT) | instid1(VALU_DEP_1)
	v_sub_nc_u32_e32 v72, v0, v6
	v_lshlrev_b32_e32 v42, 4, v72
	s_delay_alu instid0(VALU_DEP_3) | instskip(NEXT) | instid1(VALU_DEP_1)
	v_add_co_u32 v0, s0, s4, v3
	v_add_co_ci_u32_e64 v3, s0, s5, v4, s0
	s_mov_b32 s4, exec_lo
	s_delay_alu instid0(VALU_DEP_2) | instskip(NEXT) | instid1(VALU_DEP_1)
	v_add_co_u32 v0, s0, v0, v1
	v_add_co_ci_u32_e64 v1, s0, v3, v2, s0
	s_delay_alu instid0(VALU_DEP_2) | instskip(NEXT) | instid1(VALU_DEP_1)
	v_add_co_u32 v14, s0, v0, v42
	v_add_co_ci_u32_e64 v15, s0, 0, v1, s0
	s_clause 0x1
	global_load_b128 v[2:5], v[14:15], off
	global_load_b128 v[6:9], v[14:15], off offset:1360
	v_add_co_u32 v26, s0, 0x1000, v14
	s_delay_alu instid0(VALU_DEP_1) | instskip(SKIP_1) | instid1(VALU_DEP_1)
	v_add_co_ci_u32_e64 v27, s0, 0, v15, s0
	v_add_co_u32 v38, s0, 0x2000, v14
	v_add_co_ci_u32_e64 v39, s0, 0, v15, s0
	s_clause 0x7
	global_load_b128 v[10:13], v[14:15], off offset:2720
	global_load_b128 v[14:17], v[14:15], off offset:4080
	;; [unrolled: 1-line block ×8, first 2 shown]
	v_add_nc_u32_e32 v42, 0, v42
	s_waitcnt vmcnt(9)
	ds_store_b128 v42, v[2:5]
	s_waitcnt vmcnt(8)
	ds_store_b128 v42, v[6:9] offset:1360
	s_waitcnt vmcnt(7)
	ds_store_b128 v42, v[10:13] offset:2720
	;; [unrolled: 2-line block ×9, first 2 shown]
	v_cmpx_eq_u32_e32 0x54, v72
	s_cbranch_execz .LBB0_14
; %bb.13:
	v_add_co_u32 v0, s0, 0x3000, v0
	s_delay_alu instid0(VALU_DEP_1)
	v_add_co_ci_u32_e64 v1, s0, 0, v1, s0
	v_mov_b32_e32 v4, 0
	v_mov_b32_e32 v72, 0x54
	global_load_b128 v[0:3], v[0:1], off offset:1312
	s_waitcnt vmcnt(0)
	ds_store_b128 v4, v[0:3] offset:13600
.LBB0_14:
	s_or_b32 exec_lo, exec_lo, s4
.LBB0_15:
	s_delay_alu instid0(SALU_CYCLE_1)
	s_or_b32 exec_lo, exec_lo, s1
	v_lshlrev_b32_e32 v74, 4, v72
	s_waitcnt lgkmcnt(0)
	s_barrier
	buffer_gl0_inv
	s_add_u32 s1, s8, 0x3480
	v_add_nc_u32_e32 v185, 0, v74
	v_sub_nc_u32_e32 v10, 0, v74
	s_addc_u32 s4, s9, 0
	s_mov_b32 s5, exec_lo
                                        ; implicit-def: $vgpr4_vgpr5
	ds_load_b64 v[6:7], v185
	ds_load_b64 v[8:9], v10 offset:13600
	s_waitcnt lgkmcnt(0)
	v_add_f64 v[0:1], v[6:7], v[8:9]
	v_add_f64 v[2:3], v[6:7], -v[8:9]
	v_cmpx_ne_u32_e32 0, v72
	s_xor_b32 s5, exec_lo, s5
	s_cbranch_execz .LBB0_17
; %bb.16:
	v_mov_b32_e32 v73, 0
	v_add_f64 v[13:14], v[6:7], v[8:9]
	v_add_f64 v[15:16], v[6:7], -v[8:9]
	s_delay_alu instid0(VALU_DEP_3) | instskip(NEXT) | instid1(VALU_DEP_1)
	v_lshlrev_b64 v[0:1], 4, v[72:73]
	v_add_co_u32 v0, s0, s1, v0
	s_delay_alu instid0(VALU_DEP_1)
	v_add_co_ci_u32_e64 v1, s0, s4, v1, s0
	global_load_b128 v[2:5], v[0:1], off
	ds_load_b64 v[0:1], v10 offset:13608
	ds_load_b64 v[11:12], v185 offset:8
	s_waitcnt lgkmcnt(0)
	v_add_f64 v[6:7], v[0:1], v[11:12]
	v_add_f64 v[0:1], v[11:12], -v[0:1]
	s_waitcnt vmcnt(0)
	v_fma_f64 v[8:9], v[15:16], v[4:5], v[13:14]
	v_fma_f64 v[11:12], -v[15:16], v[4:5], v[13:14]
	s_delay_alu instid0(VALU_DEP_3) | instskip(SKIP_1) | instid1(VALU_DEP_4)
	v_fma_f64 v[13:14], v[6:7], v[4:5], -v[0:1]
	v_fma_f64 v[4:5], v[6:7], v[4:5], v[0:1]
	v_fma_f64 v[0:1], -v[6:7], v[2:3], v[8:9]
	s_delay_alu instid0(VALU_DEP_4) | instskip(NEXT) | instid1(VALU_DEP_4)
	v_fma_f64 v[6:7], v[6:7], v[2:3], v[11:12]
	v_fma_f64 v[8:9], v[15:16], v[2:3], v[13:14]
	s_delay_alu instid0(VALU_DEP_4)
	v_fma_f64 v[2:3], v[15:16], v[2:3], v[4:5]
	v_dual_mov_b32 v4, v72 :: v_dual_mov_b32 v5, v73
	ds_store_b128 v10, v[6:9] offset:13600
.LBB0_17:
	s_and_not1_saveexec_b32 s0, s5
	s_cbranch_execz .LBB0_19
; %bb.18:
	v_mov_b32_e32 v8, 0
	ds_load_b128 v[4:7], v8 offset:6800
	s_waitcnt lgkmcnt(0)
	v_add_f64 v[11:12], v[4:5], v[4:5]
	v_mul_f64 v[13:14], v[6:7], -2.0
	v_mov_b32_e32 v4, 0
	v_mov_b32_e32 v5, 0
	ds_store_b128 v8, v[11:14] offset:6800
.LBB0_19:
	s_or_b32 exec_lo, exec_lo, s0
	v_lshlrev_b64 v[4:5], 4, v[4:5]
	s_mov_b32 s5, 0xbfee6f0e
	s_mov_b32 s10, 0x4755a5e
	;; [unrolled: 1-line block ×5, first 2 shown]
	v_add_co_u32 v23, s0, s1, v4
	s_delay_alu instid0(VALU_DEP_1)
	v_add_co_ci_u32_e64 v24, s0, s4, v5, s0
	s_mov_b32 s14, 0x372fe950
	s_mov_b32 s15, 0x3fd3c6ef
	;; [unrolled: 1-line block ×3, first 2 shown]
	s_clause 0x1
	global_load_b128 v[4:7], v[23:24], off offset:1360
	global_load_b128 v[11:14], v[23:24], off offset:2720
	ds_store_b128 v185, v[0:3]
	ds_load_b128 v[0:3], v185 offset:1360
	ds_load_b128 v[15:18], v10 offset:12240
	global_load_b128 v[19:22], v[23:24], off offset:4080
	s_mov_b32 s17, 0x3fe9e377
	s_waitcnt lgkmcnt(0)
	v_add_f64 v[8:9], v[0:1], v[15:16]
	v_add_f64 v[25:26], v[17:18], v[2:3]
	v_add_f64 v[15:16], v[0:1], -v[15:16]
	v_add_f64 v[0:1], v[2:3], -v[17:18]
	s_waitcnt vmcnt(2)
	s_delay_alu instid0(VALU_DEP_2) | instskip(NEXT) | instid1(VALU_DEP_2)
	v_fma_f64 v[2:3], v[15:16], v[6:7], v[8:9]
	v_fma_f64 v[17:18], v[25:26], v[6:7], v[0:1]
	v_fma_f64 v[8:9], -v[15:16], v[6:7], v[8:9]
	v_fma_f64 v[27:28], v[25:26], v[6:7], -v[0:1]
	s_delay_alu instid0(VALU_DEP_4) | instskip(NEXT) | instid1(VALU_DEP_4)
	v_fma_f64 v[0:1], -v[25:26], v[4:5], v[2:3]
	v_fma_f64 v[2:3], v[15:16], v[4:5], v[17:18]
	s_delay_alu instid0(VALU_DEP_4) | instskip(NEXT) | instid1(VALU_DEP_4)
	v_fma_f64 v[6:7], v[25:26], v[4:5], v[8:9]
	v_fma_f64 v[8:9], v[15:16], v[4:5], v[27:28]
	ds_store_b128 v185, v[0:3] offset:1360
	ds_store_b128 v10, v[6:9] offset:12240
	ds_load_b128 v[0:3], v185 offset:2720
	ds_load_b128 v[4:7], v10 offset:10880
	v_add_co_u32 v8, s0, 0x1000, v23
	s_delay_alu instid0(VALU_DEP_1)
	v_add_co_ci_u32_e64 v9, s0, 0, v24, s0
	s_mov_b32 s0, 0x134454ff
	s_mov_b32 s1, 0x3fee6f0e
	;; [unrolled: 1-line block ×3, first 2 shown]
	global_load_b128 v[15:18], v[8:9], off offset:1344
	s_waitcnt lgkmcnt(0)
	v_add_f64 v[8:9], v[0:1], v[4:5]
	v_add_f64 v[23:24], v[6:7], v[2:3]
	v_add_f64 v[25:26], v[0:1], -v[4:5]
	v_add_f64 v[0:1], v[2:3], -v[6:7]
	s_waitcnt vmcnt(2)
	s_delay_alu instid0(VALU_DEP_2) | instskip(NEXT) | instid1(VALU_DEP_2)
	v_fma_f64 v[2:3], v[25:26], v[13:14], v[8:9]
	v_fma_f64 v[4:5], v[23:24], v[13:14], v[0:1]
	v_fma_f64 v[6:7], -v[25:26], v[13:14], v[8:9]
	v_fma_f64 v[8:9], v[23:24], v[13:14], -v[0:1]
	s_delay_alu instid0(VALU_DEP_4) | instskip(NEXT) | instid1(VALU_DEP_4)
	v_fma_f64 v[0:1], -v[23:24], v[11:12], v[2:3]
	v_fma_f64 v[2:3], v[25:26], v[11:12], v[4:5]
	s_delay_alu instid0(VALU_DEP_4) | instskip(NEXT) | instid1(VALU_DEP_4)
	v_fma_f64 v[4:5], v[23:24], v[11:12], v[6:7]
	v_fma_f64 v[6:7], v[25:26], v[11:12], v[8:9]
	ds_store_b128 v185, v[0:3] offset:2720
	ds_store_b128 v10, v[4:7] offset:10880
	ds_load_b128 v[0:3], v185 offset:4080
	ds_load_b128 v[4:7], v10 offset:9520
	s_waitcnt lgkmcnt(0)
	v_add_f64 v[8:9], v[0:1], v[4:5]
	v_add_f64 v[11:12], v[6:7], v[2:3]
	v_add_f64 v[13:14], v[0:1], -v[4:5]
	v_add_f64 v[0:1], v[2:3], -v[6:7]
	s_waitcnt vmcnt(1)
	s_delay_alu instid0(VALU_DEP_2) | instskip(NEXT) | instid1(VALU_DEP_2)
	v_fma_f64 v[2:3], v[13:14], v[21:22], v[8:9]
	v_fma_f64 v[4:5], v[11:12], v[21:22], v[0:1]
	v_fma_f64 v[6:7], -v[13:14], v[21:22], v[8:9]
	v_fma_f64 v[8:9], v[11:12], v[21:22], -v[0:1]
	s_delay_alu instid0(VALU_DEP_4) | instskip(NEXT) | instid1(VALU_DEP_4)
	v_fma_f64 v[0:1], -v[11:12], v[19:20], v[2:3]
	v_fma_f64 v[2:3], v[13:14], v[19:20], v[4:5]
	s_delay_alu instid0(VALU_DEP_4) | instskip(NEXT) | instid1(VALU_DEP_4)
	v_fma_f64 v[4:5], v[11:12], v[19:20], v[6:7]
	v_fma_f64 v[6:7], v[13:14], v[19:20], v[8:9]
	ds_store_b128 v185, v[0:3] offset:4080
	ds_store_b128 v10, v[4:7] offset:9520
	ds_load_b128 v[0:3], v185 offset:5440
	ds_load_b128 v[4:7], v10 offset:8160
	s_waitcnt lgkmcnt(0)
	v_add_f64 v[8:9], v[0:1], v[4:5]
	v_add_f64 v[11:12], v[6:7], v[2:3]
	v_add_f64 v[13:14], v[0:1], -v[4:5]
	v_add_f64 v[0:1], v[2:3], -v[6:7]
	s_waitcnt vmcnt(0)
	s_delay_alu instid0(VALU_DEP_2) | instskip(NEXT) | instid1(VALU_DEP_2)
	v_fma_f64 v[2:3], v[13:14], v[17:18], v[8:9]
	v_fma_f64 v[4:5], v[11:12], v[17:18], v[0:1]
	v_fma_f64 v[6:7], -v[13:14], v[17:18], v[8:9]
	v_fma_f64 v[8:9], v[11:12], v[17:18], -v[0:1]
	s_delay_alu instid0(VALU_DEP_4) | instskip(NEXT) | instid1(VALU_DEP_4)
	v_fma_f64 v[0:1], -v[11:12], v[15:16], v[2:3]
	v_fma_f64 v[2:3], v[13:14], v[15:16], v[4:5]
	s_delay_alu instid0(VALU_DEP_4) | instskip(NEXT) | instid1(VALU_DEP_4)
	v_fma_f64 v[4:5], v[11:12], v[15:16], v[6:7]
	v_fma_f64 v[6:7], v[13:14], v[15:16], v[8:9]
	ds_store_b128 v185, v[0:3] offset:5440
	ds_store_b128 v10, v[4:7] offset:8160
	s_waitcnt lgkmcnt(0)
	s_barrier
	buffer_gl0_inv
	s_barrier
	buffer_gl0_inv
	ds_load_b128 v[0:3], v185 offset:6800
	ds_load_b128 v[4:7], v185 offset:9520
	;; [unrolled: 1-line block ×9, first 2 shown]
	ds_load_b128 v[36:39], v185
	s_waitcnt lgkmcnt(0)
	s_barrier
	buffer_gl0_inv
	v_add_f64 v[40:41], v[0:1], v[4:5]
	v_add_f64 v[46:47], v[2:3], v[6:7]
	v_add_f64 v[42:43], v[14:15], v[10:11]
	v_add_f64 v[44:45], v[12:13], v[8:9]
	v_add_f64 v[48:49], v[14:15], -v[10:11]
	v_add_f64 v[50:51], v[2:3], -v[6:7]
	;; [unrolled: 1-line block ×4, first 2 shown]
	v_add_f64 v[56:57], v[20:21], v[24:25]
	v_add_f64 v[58:59], v[16:17], v[28:29]
	;; [unrolled: 1-line block ×4, first 2 shown]
	v_add_f64 v[64:65], v[12:13], -v[0:1]
	v_add_f64 v[66:67], v[8:9], -v[4:5]
	;; [unrolled: 1-line block ×8, first 2 shown]
	v_add_f64 v[12:13], v[32:33], v[12:13]
	v_add_f64 v[14:15], v[34:35], v[14:15]
	v_add_f64 v[95:96], v[18:19], -v[30:31]
	v_add_f64 v[97:98], v[22:23], -v[26:27]
	v_add_f64 v[99:100], v[16:17], -v[28:29]
	v_add_f64 v[101:102], v[20:21], -v[24:25]
	v_fma_f64 v[40:41], v[40:41], -0.5, v[32:33]
	v_fma_f64 v[46:47], v[46:47], -0.5, v[34:35]
	v_fma_f64 v[42:43], v[42:43], -0.5, v[34:35]
	v_fma_f64 v[44:45], v[44:45], -0.5, v[32:33]
	v_add_f64 v[32:33], v[36:37], v[16:17]
	v_add_f64 v[34:35], v[38:39], v[18:19]
	v_fma_f64 v[56:57], v[56:57], -0.5, v[36:37]
	v_fma_f64 v[36:37], v[58:59], -0.5, v[36:37]
	v_fma_f64 v[58:59], v[60:61], -0.5, v[38:39]
	v_fma_f64 v[38:39], v[62:63], -0.5, v[38:39]
	v_add_f64 v[60:61], v[64:65], v[66:67]
	v_add_f64 v[62:63], v[75:76], v[77:78]
	;; [unrolled: 1-line block ×3, first 2 shown]
	v_add_f64 v[79:80], v[28:29], -v[24:25]
	v_add_f64 v[81:82], v[24:25], -v[28:29]
	v_add_f64 v[0:1], v[12:13], v[0:1]
	v_add_f64 v[2:3], v[14:15], v[2:3]
	v_fma_f64 v[85:86], v[48:49], s[0:1], v[40:41]
	v_fma_f64 v[40:41], v[48:49], s[4:5], v[40:41]
	;; [unrolled: 1-line block ×11, first 2 shown]
	v_add_f64 v[0:1], v[0:1], v[4:5]
	v_add_f64 v[2:3], v[2:3], v[6:7]
	v_fma_f64 v[66:67], v[50:51], s[10:11], v[85:86]
	v_fma_f64 v[40:41], v[50:51], s[12:13], v[40:41]
	;; [unrolled: 1-line block ×6, first 2 shown]
	v_add_f64 v[50:51], v[83:84], v[91:92]
	v_fma_f64 v[48:49], v[52:53], s[10:11], v[93:94]
	v_add_f64 v[54:55], v[16:17], -v[20:21]
	v_add_f64 v[16:17], v[20:21], -v[16:17]
	;; [unrolled: 1-line block ×4, first 2 shown]
	v_add_f64 v[20:21], v[32:33], v[20:21]
	v_add_f64 v[22:23], v[34:35], v[22:23]
	v_add_f64 v[85:86], v[30:31], -v[26:27]
	v_add_f64 v[87:88], v[26:27], -v[30:31]
	v_fma_f64 v[32:33], v[97:98], s[4:5], v[36:37]
	v_fma_f64 v[34:35], v[97:98], s[0:1], v[36:37]
	;; [unrolled: 1-line block ×8, first 2 shown]
	v_add_f64 v[8:9], v[0:1], v[8:9]
	v_add_f64 v[10:11], v[2:3], v[10:11]
	v_and_b32_e32 v0, 0xff, v72
	v_fma_f64 v[52:53], v[60:61], s[14:15], v[66:67]
	v_fma_f64 v[40:41], v[60:61], s[14:15], v[40:41]
	;; [unrolled: 1-line block ×7, first 2 shown]
	v_add_f64 v[54:55], v[54:55], v[79:80]
	v_add_f64 v[16:17], v[16:17], v[81:82]
	;; [unrolled: 1-line block ×6, first 2 shown]
	v_fma_f64 v[12:13], v[95:96], s[10:11], v[32:33]
	v_fma_f64 v[14:15], v[95:96], s[12:13], v[34:35]
	;; [unrolled: 1-line block ×7, first 2 shown]
	v_mul_f64 v[38:39], v[52:53], s[16:17]
	v_mul_f64 v[52:53], v[52:53], s[12:13]
	v_mul_f64 v[46:47], v[66:67], s[0:1]
	v_mul_f64 v[50:51], v[75:76], s[14:15]
	v_mul_f64 v[58:59], v[44:45], s[4:5]
	v_mul_f64 v[62:63], v[42:43], s[14:15]
	v_mul_f64 v[56:57], v[40:41], s[16:17]
	v_mul_f64 v[64:65], v[48:49], s[16:17]
	v_add_f64 v[20:21], v[20:21], v[28:29]
	v_add_f64 v[22:23], v[22:23], v[30:31]
	v_fma_f64 v[28:29], v[54:55], s[14:15], v[4:5]
	v_fma_f64 v[30:31], v[54:55], s[14:15], v[6:7]
	v_fma_f64 v[54:55], v[16:17], s[14:15], v[12:13]
	v_fma_f64 v[77:78], v[16:17], s[14:15], v[14:15]
	v_fma_f64 v[79:80], v[60:61], s[14:15], v[24:25]
	v_fma_f64 v[81:82], v[18:19], s[14:15], v[32:33]
	v_fma_f64 v[34:35], v[18:19], s[14:15], v[34:35]
	v_fma_f64 v[60:61], v[60:61], s[14:15], v[26:27]
	v_fma_f64 v[24:25], v[36:37], s[10:11], v[38:39]
	v_fma_f64 v[26:27], v[44:45], s[14:15], v[46:47]
	v_fma_f64 v[32:33], v[42:43], s[0:1], -v[50:51]
	v_fma_f64 v[42:43], v[36:37], s[16:17], v[52:53]
	v_fma_f64 v[44:45], v[66:67], s[14:15], v[58:59]
	v_fma_f64 v[46:47], v[75:76], s[4:5], -v[62:63]
	v_fma_f64 v[38:39], v[48:49], s[10:11], -v[56:57]
	;; [unrolled: 1-line block ×3, first 2 shown]
	v_mul_lo_u16 v49, 0xcd, v0
	v_add_nc_u16 v48, v72, 0x55
	v_add_f64 v[0:1], v[20:21], v[8:9]
	v_add_f64 v[2:3], v[22:23], v[10:11]
	v_add_f64 v[4:5], v[20:21], -v[8:9]
	v_add_f64 v[6:7], v[22:23], -v[10:11]
	v_and_b32_e32 v50, 0xff, v48
	v_lshrrev_b16 v73, 11, v49
	v_add_f64 v[8:9], v[28:29], v[24:25]
	v_add_f64 v[24:25], v[28:29], -v[24:25]
	v_add_f64 v[12:13], v[54:55], v[26:27]
	v_add_f64 v[16:17], v[77:78], v[32:33]
	;; [unrolled: 1-line block ×7, first 2 shown]
	v_add_f64 v[28:29], v[54:55], -v[26:27]
	v_add_f64 v[26:27], v[79:80], -v[42:43]
	;; [unrolled: 1-line block ×7, first 2 shown]
	v_mul_lo_u16 v40, 0xcd, v50
	v_mul_lo_u16 v41, v73, 10
	s_delay_alu instid0(VALU_DEP_2) | instskip(NEXT) | instid1(VALU_DEP_2)
	v_lshrrev_b16 v111, 11, v40
	v_sub_nc_u16 v40, v72, v41
	s_delay_alu instid0(VALU_DEP_2) | instskip(NEXT) | instid1(VALU_DEP_2)
	v_mul_lo_u16 v41, v111, 10
	v_and_b32_e32 v112, 0xff, v40
	s_delay_alu instid0(VALU_DEP_2) | instskip(SKIP_1) | instid1(VALU_DEP_3)
	v_sub_nc_u16 v40, v48, v41
	v_mad_u32_u24 v41, 0x90, v72, v185
	v_lshlrev_b32_e32 v42, 6, v112
	ds_store_b128 v41, v[0:3]
	ds_store_b128 v41, v[8:11] offset:16
	ds_store_b128 v41, v[12:15] offset:32
	;; [unrolled: 1-line block ×9, first 2 shown]
	v_and_b32_e32 v113, 0xff, v40
	s_waitcnt lgkmcnt(0)
	s_barrier
	buffer_gl0_inv
	s_clause 0x2
	global_load_b128 v[0:3], v42, s[8:9]
	global_load_b128 v[4:7], v42, s[8:9] offset:16
	global_load_b128 v[8:11], v42, s[8:9] offset:32
	v_lshlrev_b32_e32 v28, 6, v113
	s_clause 0x4
	global_load_b128 v[12:15], v42, s[8:9] offset:48
	global_load_b128 v[16:19], v28, s[8:9]
	global_load_b128 v[20:23], v28, s[8:9] offset:16
	global_load_b128 v[24:27], v28, s[8:9] offset:32
	;; [unrolled: 1-line block ×3, first 2 shown]
	ds_load_b128 v[32:35], v185 offset:2720
	ds_load_b128 v[36:39], v185 offset:5440
	ds_load_b128 v[40:43], v185 offset:8160
	ds_load_b128 v[44:47], v185 offset:10880
	ds_load_b128 v[48:51], v185 offset:4080
	ds_load_b128 v[52:55], v185 offset:6800
	ds_load_b128 v[56:59], v185 offset:9520
	ds_load_b128 v[60:63], v185 offset:12240
	s_waitcnt vmcnt(7) lgkmcnt(7)
	v_mul_f64 v[64:65], v[34:35], v[2:3]
	s_waitcnt vmcnt(6) lgkmcnt(6)
	v_mul_f64 v[66:67], v[38:39], v[6:7]
	;; [unrolled: 2-line block ×3, first 2 shown]
	v_mul_f64 v[2:3], v[32:33], v[2:3]
	s_waitcnt vmcnt(4) lgkmcnt(4)
	v_mul_f64 v[77:78], v[46:47], v[14:15]
	v_mul_f64 v[6:7], v[36:37], v[6:7]
	;; [unrolled: 1-line block ×4, first 2 shown]
	s_waitcnt vmcnt(3) lgkmcnt(3)
	v_mul_f64 v[79:80], v[50:51], v[18:19]
	s_waitcnt vmcnt(2) lgkmcnt(2)
	v_mul_f64 v[81:82], v[54:55], v[22:23]
	;; [unrolled: 2-line block ×3, first 2 shown]
	v_mul_f64 v[22:23], v[52:53], v[22:23]
	s_waitcnt vmcnt(0) lgkmcnt(0)
	v_mul_f64 v[85:86], v[62:63], v[30:31]
	v_mul_f64 v[26:27], v[56:57], v[26:27]
	;; [unrolled: 1-line block ×4, first 2 shown]
	v_fma_f64 v[32:33], v[32:33], v[0:1], -v[64:65]
	v_fma_f64 v[36:37], v[36:37], v[4:5], -v[66:67]
	;; [unrolled: 1-line block ×3, first 2 shown]
	v_fma_f64 v[34:35], v[34:35], v[0:1], v[2:3]
	v_fma_f64 v[44:45], v[44:45], v[12:13], -v[77:78]
	v_fma_f64 v[38:39], v[38:39], v[4:5], v[6:7]
	v_fma_f64 v[8:9], v[42:43], v[8:9], v[10:11]
	;; [unrolled: 1-line block ×3, first 2 shown]
	v_fma_f64 v[12:13], v[48:49], v[16:17], -v[79:80]
	v_fma_f64 v[14:15], v[52:53], v[20:21], -v[81:82]
	;; [unrolled: 1-line block ×3, first 2 shown]
	v_fma_f64 v[20:21], v[54:55], v[20:21], v[22:23]
	v_fma_f64 v[22:23], v[60:61], v[28:29], -v[85:86]
	v_fma_f64 v[24:25], v[58:59], v[24:25], v[26:27]
	v_fma_f64 v[16:17], v[50:51], v[16:17], v[18:19]
	;; [unrolled: 1-line block ×3, first 2 shown]
	ds_load_b128 v[0:3], v185
	ds_load_b128 v[4:7], v185 offset:1360
	s_waitcnt lgkmcnt(0)
	s_barrier
	buffer_gl0_inv
	v_add_f64 v[56:57], v[0:1], v[32:33]
	v_add_f64 v[26:27], v[36:37], v[40:41]
	v_add_f64 v[58:59], v[2:3], v[34:35]
	v_add_f64 v[28:29], v[32:33], v[44:45]
	v_add_f64 v[75:76], v[32:33], -v[44:45]
	v_add_f64 v[30:31], v[38:39], v[8:9]
	v_add_f64 v[46:47], v[34:35], v[10:11]
	;; [unrolled: 1-line block ×3, first 2 shown]
	v_add_f64 v[64:65], v[34:35], -v[10:11]
	v_add_f64 v[48:49], v[14:15], v[42:43]
	v_add_f64 v[66:67], v[38:39], -v[8:9]
	v_add_f64 v[50:51], v[12:13], v[22:23]
	v_add_f64 v[52:53], v[20:21], v[24:25]
	;; [unrolled: 1-line block ×4, first 2 shown]
	v_add_f64 v[77:78], v[16:17], -v[18:19]
	v_add_f64 v[79:80], v[12:13], -v[22:23]
	;; [unrolled: 1-line block ×16, first 2 shown]
	v_fma_f64 v[26:27], v[26:27], -0.5, v[0:1]
	v_add_f64 v[38:39], v[58:59], v[38:39]
	v_fma_f64 v[0:1], v[28:29], -0.5, v[0:1]
	v_add_f64 v[28:29], v[36:37], -v[40:41]
	v_fma_f64 v[30:31], v[30:31], -0.5, v[2:3]
	v_fma_f64 v[2:3], v[46:47], -0.5, v[2:3]
	v_add_f64 v[46:47], v[20:21], -v[24:25]
	v_fma_f64 v[48:49], v[48:49], -0.5, v[4:5]
	;; [unrolled: 3-line block ×3, first 2 shown]
	v_fma_f64 v[6:7], v[54:55], -0.5, v[6:7]
	v_add_f64 v[54:55], v[32:33], -v[36:37]
	v_add_f64 v[32:33], v[36:37], -v[32:33]
	v_add_f64 v[36:37], v[56:57], v[36:37]
	v_add_f64 v[14:15], v[60:61], v[14:15]
	;; [unrolled: 1-line block ×5, first 2 shown]
	v_fma_f64 v[56:57], v[64:65], s[0:1], v[26:27]
	v_fma_f64 v[26:27], v[64:65], s[4:5], v[26:27]
	;; [unrolled: 1-line block ×16, first 2 shown]
	v_add_f64 v[54:55], v[54:55], v[81:82]
	v_add_f64 v[32:33], v[32:33], v[83:84]
	;; [unrolled: 1-line block ×10, first 2 shown]
	v_cmp_gt_u32_e64 s0, 50, v72
	v_fma_f64 v[20:21], v[66:67], s[10:11], v[56:57]
	v_fma_f64 v[24:25], v[66:67], s[12:13], v[26:27]
	;; [unrolled: 1-line block ×16, first 2 shown]
	v_add_f64 v[0:1], v[12:13], v[44:45]
	v_add_f64 v[2:3], v[8:9], v[10:11]
	;; [unrolled: 1-line block ×4, first 2 shown]
	v_lshlrev_b32_e32 v22, 4, v112
	v_lshlrev_b32_e32 v23, 4, v113
	v_fma_f64 v[12:13], v[54:55], s[14:15], v[20:21]
	v_fma_f64 v[16:17], v[54:55], s[14:15], v[24:25]
	;; [unrolled: 1-line block ×16, first 2 shown]
	v_and_b32_e32 v20, 0xffff, v73
	v_and_b32_e32 v21, 0xffff, v111
                                        ; implicit-def: $vgpr38_vgpr39
                                        ; implicit-def: $vgpr30_vgpr31
                                        ; implicit-def: $vgpr26_vgpr27
                                        ; implicit-def: $vgpr34_vgpr35
                                        ; implicit-def: $vgpr50_vgpr51
                                        ; implicit-def: $vgpr66_vgpr67
	s_delay_alu instid0(VALU_DEP_2) | instskip(NEXT) | instid1(VALU_DEP_2)
	v_mul_u32_u24_e32 v20, 0x320, v20
	v_mul_u32_u24_e32 v21, 0x320, v21
	s_delay_alu instid0(VALU_DEP_2) | instskip(NEXT) | instid1(VALU_DEP_2)
	v_add3_u32 v20, 0, v20, v22
	v_add3_u32 v21, 0, v21, v23
	ds_store_b128 v20, v[0:3]
	ds_store_b128 v20, v[12:15] offset:160
	ds_store_b128 v20, v[4:7] offset:320
	;; [unrolled: 1-line block ×4, first 2 shown]
	ds_store_b128 v21, v[40:43]
	ds_store_b128 v21, v[44:47] offset:160
	ds_store_b128 v21, v[52:55] offset:320
	;; [unrolled: 1-line block ×4, first 2 shown]
	s_waitcnt lgkmcnt(0)
	s_barrier
	buffer_gl0_inv
                                        ; implicit-def: $vgpr22_vgpr23
	s_and_saveexec_b32 s1, s0
	s_cbranch_execz .LBB0_21
; %bb.20:
	ds_load_b128 v[0:3], v185
	ds_load_b128 v[12:15], v185 offset:800
	ds_load_b128 v[4:7], v185 offset:1600
	;; [unrolled: 1-line block ×16, first 2 shown]
.LBB0_21:
	s_or_b32 exec_lo, exec_lo, s1
	s_waitcnt lgkmcnt(0)
	s_barrier
	buffer_gl0_inv
	s_and_saveexec_b32 s33, s0
	s_cbranch_execz .LBB0_23
; %bb.22:
	v_add_nc_u32_e32 v73, 0xfffffce0, v74
	s_mov_b32 s12, 0x3259b75e
	s_mov_b32 s22, 0x2b2883cd
	;; [unrolled: 1-line block ×4, first 2 shown]
	v_cndmask_b32_e64 v73, v73, v74, s0
	v_mov_b32_e32 v74, 0
	s_mov_b32 s48, 0x370991
	s_mov_b32 s10, 0x7faef3
	;; [unrolled: 1-line block ×4, first 2 shown]
	v_lshlrev_b64 v[73:74], 4, v[73:74]
	s_mov_b32 s5, 0xbfe348c8
	s_mov_b32 s25, 0x3fe7a5f6
	;; [unrolled: 1-line block ×5, first 2 shown]
	v_add_co_u32 v81, s0, s8, v73
	s_delay_alu instid0(VALU_DEP_1)
	v_add_co_ci_u32_e64 v82, s0, s9, v74, s0
	s_mov_b32 s0, 0xc61f0d01
	s_mov_b32 s8, 0x910ea3b9
	s_clause 0x1
	global_load_b128 v[75:78], v[81:82], off offset:752
	global_load_b128 v[83:86], v[81:82], off offset:736
	s_mov_b32 s1, 0xbfd183b1
	s_mov_b32 s9, 0xbfeb34fa
	s_mov_b32 s14, 0x923c349f
	s_mov_b32 s42, 0x7c9e640b
	s_mov_b32 s16, 0x6c9a05f6
	s_mov_b32 s46, 0x2a9d6da3
	s_mov_b32 s18, 0x4363dd80
	s_mov_b32 s50, 0x5d8e7cdc
	s_mov_b32 s20, 0xacd6c6b4
	s_mov_b32 s37, 0xbfefdd0d
	s_mov_b32 s15, 0x3feec746
	s_mov_b32 s43, 0xbfeca52d
	s_mov_b32 s17, 0x3fe9895b
	s_mov_b32 s47, 0xbfe58eea
	s_mov_b32 s19, 0x3fe0d888
	s_mov_b32 s51, 0xbfd71e95
	s_mov_b32 s21, 0x3fc7851a
	s_mov_b32 s27, 0x3fefdd0d
	s_mov_b32 s45, 0xbfeec746
	s_mov_b32 s29, 0x3feca52d
	s_mov_b32 s41, 0xbfe9895b
	s_mov_b32 s31, 0x3fe58eea
	s_mov_b32 s39, 0xbfe0d888
	s_mov_b32 s53, 0x3fd71e95
	s_mov_b32 s35, 0xbfc7851a
	s_mov_b32 s26, s36
	s_mov_b32 s44, s14
	s_mov_b32 s28, s42
	s_mov_b32 s40, s16
	s_mov_b32 s30, s46
	s_mov_b32 s38, s18
	s_mov_b32 s52, s50
	s_mov_b32 s34, s20
	s_waitcnt vmcnt(1)
	v_mul_f64 v[73:74], v[60:61], v[77:78]
	s_delay_alu instid0(VALU_DEP_1) | instskip(SKIP_1) | instid1(VALU_DEP_1)
	v_fma_f64 v[73:74], v[62:63], v[75:76], v[73:74]
	v_mul_f64 v[62:63], v[62:63], v[77:78]
	v_fma_f64 v[60:61], v[60:61], v[75:76], -v[62:63]
	s_clause 0x1
	global_load_b128 v[75:78], v[81:82], off offset:768
	global_load_b128 v[87:90], v[81:82], off offset:784
	s_waitcnt vmcnt(1)
	v_mul_f64 v[62:63], v[56:57], v[77:78]
	s_delay_alu instid0(VALU_DEP_1) | instskip(SKIP_1) | instid1(VALU_DEP_1)
	v_fma_f64 v[79:80], v[58:59], v[75:76], v[62:63]
	v_mul_f64 v[58:59], v[58:59], v[77:78]
	v_fma_f64 v[159:160], v[56:57], v[75:76], -v[58:59]
	v_mul_f64 v[58:59], v[52:53], v[85:86]
	s_delay_alu instid0(VALU_DEP_1) | instskip(SKIP_1) | instid1(VALU_DEP_1)
	v_fma_f64 v[58:59], v[54:55], v[83:84], v[58:59]
	v_mul_f64 v[54:55], v[54:55], v[85:86]
	v_fma_f64 v[52:53], v[52:53], v[83:84], -v[54:55]
	s_clause 0x1
	global_load_b128 v[75:78], v[81:82], off offset:720
	global_load_b128 v[83:86], v[81:82], off offset:704
	s_waitcnt vmcnt(2)
	v_mul_f64 v[54:55], v[64:65], v[89:90]
	s_delay_alu instid0(VALU_DEP_1) | instskip(SKIP_1) | instid1(VALU_DEP_2)
	v_fma_f64 v[54:55], v[66:67], v[87:88], v[54:55]
	v_mul_f64 v[66:67], v[66:67], v[89:90]
	v_add_f64 v[153:154], v[58:59], v[54:55]
	s_delay_alu instid0(VALU_DEP_2) | instskip(SKIP_1) | instid1(VALU_DEP_3)
	v_fma_f64 v[64:65], v[64:65], v[87:88], -v[66:67]
	v_add_f64 v[155:156], v[58:59], -v[54:55]
	v_mul_f64 v[210:211], v[153:154], s[0:1]
	s_delay_alu instid0(VALU_DEP_2) | instskip(SKIP_2) | instid1(VALU_DEP_1)
	v_mul_f64 v[212:213], v[155:156], s[44:45]
	s_waitcnt vmcnt(1)
	v_mul_f64 v[66:67], v[44:45], v[77:78]
	v_fma_f64 v[66:67], v[46:47], v[75:76], v[66:67]
	v_mul_f64 v[46:47], v[46:47], v[77:78]
	s_delay_alu instid0(VALU_DEP_1)
	v_fma_f64 v[147:148], v[44:45], v[75:76], -v[46:47]
	s_clause 0x1
	global_load_b128 v[87:90], v[81:82], off offset:800
	global_load_b128 v[44:47], v[81:82], off offset:816
	s_waitcnt vmcnt(1)
	v_mul_f64 v[77:78], v[48:49], v[89:90]
	s_delay_alu instid0(VALU_DEP_1) | instskip(SKIP_1) | instid1(VALU_DEP_2)
	v_fma_f64 v[77:78], v[50:51], v[87:88], v[77:78]
	v_mul_f64 v[50:51], v[50:51], v[89:90]
	v_add_f64 v[145:146], v[66:67], v[77:78]
	s_delay_alu instid0(VALU_DEP_2) | instskip(SKIP_1) | instid1(VALU_DEP_1)
	v_fma_f64 v[48:49], v[48:49], v[87:88], -v[50:51]
	v_mul_f64 v[50:51], v[40:41], v[85:86]
	v_fma_f64 v[50:51], v[42:43], v[83:84], v[50:51]
	v_mul_f64 v[42:43], v[42:43], v[85:86]
	s_delay_alu instid0(VALU_DEP_1)
	v_fma_f64 v[143:144], v[40:41], v[83:84], -v[42:43]
	s_clause 0x1
	global_load_b128 v[40:43], v[81:82], off offset:640
	global_load_b128 v[89:92], v[81:82], off offset:656
	s_waitcnt vmcnt(1)
	v_mul_f64 v[83:84], v[12:13], v[42:43]
	s_delay_alu instid0(VALU_DEP_1) | instskip(SKIP_1) | instid1(VALU_DEP_1)
	v_fma_f64 v[97:98], v[14:15], v[40:41], v[83:84]
	v_mul_f64 v[14:15], v[14:15], v[42:43]
	v_fma_f64 v[99:100], v[12:13], v[40:41], -v[14:15]
	s_clause 0x1
	global_load_b128 v[12:15], v[81:82], off offset:880
	global_load_b128 v[93:96], v[81:82], off offset:864
	s_waitcnt vmcnt(1)
	v_mul_f64 v[40:41], v[36:37], v[14:15]
	v_mul_f64 v[14:15], v[38:39], v[14:15]
	s_delay_alu instid0(VALU_DEP_2) | instskip(NEXT) | instid1(VALU_DEP_2)
	v_fma_f64 v[40:41], v[38:39], v[12:13], v[40:41]
	v_fma_f64 v[36:37], v[36:37], v[12:13], -v[14:15]
	v_mul_f64 v[12:13], v[32:33], v[46:47]
	s_delay_alu instid0(VALU_DEP_2) | instskip(NEXT) | instid1(VALU_DEP_2)
	v_add_f64 v[121:122], v[99:100], v[36:37]
	v_fma_f64 v[38:39], v[34:35], v[44:45], v[12:13]
	v_mul_f64 v[12:13], v[34:35], v[46:47]
	s_delay_alu instid0(VALU_DEP_1)
	v_fma_f64 v[32:33], v[32:33], v[44:45], -v[12:13]
	s_clause 0x1
	global_load_b128 v[12:15], v[81:82], off offset:688
	global_load_b128 v[85:88], v[81:82], off offset:672
	s_waitcnt vmcnt(1)
	v_mul_f64 v[34:35], v[16:17], v[14:15]
	v_mul_f64 v[14:15], v[18:19], v[14:15]
	s_delay_alu instid0(VALU_DEP_2) | instskip(NEXT) | instid1(VALU_DEP_2)
	v_fma_f64 v[46:47], v[18:19], v[12:13], v[34:35]
	v_fma_f64 v[83:84], v[16:17], v[12:13], -v[14:15]
	s_clause 0x1
	global_load_b128 v[12:15], v[81:82], off offset:832
	global_load_b128 v[16:19], v[81:82], off offset:848
	scratch_store_b64 off, v[40:41], off    ; 8-byte Folded Spill
	s_waitcnt vmcnt(1)
	v_mul_f64 v[34:35], v[20:21], v[14:15]
	v_mul_f64 v[14:15], v[22:23], v[14:15]
	s_delay_alu instid0(VALU_DEP_2) | instskip(NEXT) | instid1(VALU_DEP_2)
	v_fma_f64 v[34:35], v[22:23], v[12:13], v[34:35]
	v_fma_f64 v[42:43], v[20:21], v[12:13], -v[14:15]
	v_mul_f64 v[12:13], v[8:9], v[87:88]
	v_add_f64 v[20:21], v[99:100], -v[36:37]
	s_clause 0x1
	scratch_store_b64 off, v[34:35], off offset:56
	scratch_store_b64 off, v[42:43], off offset:64
	v_fma_f64 v[81:82], v[10:11], v[85:86], v[12:13]
	v_mul_f64 v[10:11], v[10:11], v[87:88]
	s_delay_alu instid0(VALU_DEP_1) | instskip(SKIP_2) | instid1(VALU_DEP_1)
	v_fma_f64 v[85:86], v[8:9], v[85:86], -v[10:11]
	s_waitcnt vmcnt(0)
	v_mul_f64 v[8:9], v[24:25], v[18:19]
	v_fma_f64 v[44:45], v[26:27], v[16:17], v[8:9]
	v_mul_f64 v[8:9], v[26:27], v[18:19]
	scratch_store_b64 off, v[44:45], off offset:48 ; 8-byte Folded Spill
	v_fma_f64 v[75:76], v[24:25], v[16:17], -v[8:9]
	v_mul_f64 v[8:9], v[4:5], v[91:92]
	v_add_f64 v[24:25], v[2:3], v[97:98]
	scratch_store_b64 off, v[36:37], off offset:8 ; 8-byte Folded Spill
	v_mul_f64 v[36:37], v[153:154], s[4:5]
	v_fma_f64 v[87:88], v[6:7], v[89:90], v[8:9]
	v_mul_f64 v[6:7], v[6:7], v[91:92]
	s_delay_alu instid0(VALU_DEP_1) | instskip(SKIP_1) | instid1(VALU_DEP_1)
	v_fma_f64 v[89:90], v[4:5], v[89:90], -v[6:7]
	v_mul_f64 v[4:5], v[28:29], v[95:96]
	v_fma_f64 v[62:63], v[30:31], v[93:94], v[4:5]
	v_mul_f64 v[4:5], v[30:31], v[95:96]
	s_delay_alu instid0(VALU_DEP_1) | instskip(SKIP_1) | instid1(VALU_DEP_1)
	v_fma_f64 v[56:57], v[28:29], v[93:94], -v[4:5]
	v_add_f64 v[4:5], v[97:98], v[40:41]
	v_mul_f64 v[6:7], v[4:5], s[10:11]
	v_mul_f64 v[8:9], v[4:5], s[8:9]
	;; [unrolled: 1-line block ×8, first 2 shown]
	v_fma_f64 v[22:23], v[20:21], s[20:21], v[6:7]
	v_fma_f64 v[6:7], v[20:21], s[34:35], v[6:7]
	;; [unrolled: 1-line block ×16, first 2 shown]
	v_add_f64 v[20:21], v[97:98], -v[40:41]
	v_add_f64 v[97:98], v[89:90], -v[56:57]
	v_mul_f64 v[40:41], v[145:146], s[8:9]
	v_add_f64 v[22:23], v[2:3], v[22:23]
	v_add_f64 v[6:7], v[2:3], v[6:7]
	;; [unrolled: 1-line block ×7, first 2 shown]
	v_add_f64 v[101:102], v[85:86], -v[75:76]
	v_add_f64 v[175:176], v[2:3], v[12:13]
	v_add_f64 v[167:168], v[2:3], v[103:104]
	;; [unrolled: 1-line block ×7, first 2 shown]
	scratch_store_b64 off, v[24:25], off offset:16 ; 8-byte Folded Spill
	v_mul_f64 v[95:96], v[20:21], s[38:39]
	v_mul_f64 v[113:114], v[20:21], s[44:45]
	;; [unrolled: 1-line block ×8, first 2 shown]
	v_add_f64 v[24:25], v[0:1], v[99:100]
	v_add_f64 v[99:100], v[89:90], v[56:57]
	;; [unrolled: 1-line block ×4, first 2 shown]
	v_add_f64 v[105:106], v[83:84], -v[42:43]
	v_add_f64 v[107:108], v[83:84], v[42:43]
	scratch_store_b64 off, v[8:9], off offset:24 ; 8-byte Folded Spill
	v_fma_f64 v[129:130], v[121:122], s[8:9], -v[95:96]
	v_fma_f64 v[127:128], v[121:122], s[8:9], v[95:96]
	v_fma_f64 v[133:134], v[121:122], s[0:1], v[113:114]
	;; [unrolled: 1-line block ×3, first 2 shown]
	v_fma_f64 v[125:126], v[121:122], s[10:11], -v[30:31]
	v_fma_f64 v[131:132], v[121:122], s[4:5], v[111:112]
	v_fma_f64 v[111:112], v[121:122], s[4:5], -v[111:112]
	v_fma_f64 v[113:114], v[121:122], s[0:1], -v[113:114]
	v_fma_f64 v[135:136], v[121:122], s[12:13], v[115:116]
	v_fma_f64 v[115:116], v[121:122], s[12:13], -v[115:116]
	v_fma_f64 v[137:138], v[121:122], s[22:23], v[117:118]
	;; [unrolled: 2-line block ×4, first 2 shown]
	v_fma_f64 v[20:21], v[121:122], s[48:49], -v[20:21]
	v_dual_mov_b32 v96, v74 :: v_dual_mov_b32 v95, v73
	s_delay_alu instid0(VALU_DEP_1)
	v_add_f64 v[157:158], v[95:96], v[79:80]
	v_add_f64 v[194:195], v[0:1], v[129:130]
	;; [unrolled: 1-line block ×20, first 2 shown]
	v_add_f64 v[131:132], v[87:88], -v[62:63]
	scratch_store_b64 off, v[24:25], off offset:40 ; 8-byte Folded Spill
	v_add_f64 v[135:136], v[81:82], -v[44:45]
	v_add_f64 v[137:138], v[46:47], v[34:35]
	v_add_f64 v[139:140], v[46:47], -v[34:35]
	v_add_f64 v[141:142], v[50:51], v[38:39]
	v_dual_mov_b32 v24, v147 :: v_dual_mov_b32 v25, v148
	v_add_f64 v[147:148], v[66:67], -v[77:78]
	v_mul_f64 v[216:217], v[157:158], s[12:13]
	v_mul_f64 v[34:35], v[155:156], s[16:17]
	s_delay_alu instid0(VALU_DEP_4)
	v_add_f64 v[113:114], v[24:25], -v[48:49]
	v_mul_f64 v[4:5], v[129:130], s[48:49]
	v_mul_f64 v[28:29], v[129:130], s[8:9]
	;; [unrolled: 1-line block ×3, first 2 shown]
	s_clause 0x2
	scratch_store_b64 off, v[8:9], off offset:32
	scratch_store_b64 off, v[50:51], off offset:104
	;; [unrolled: 1-line block ×3, first 2 shown]
	v_mul_f64 v[8:9], v[131:132], s[52:53]
	v_mul_f64 v[26:27], v[131:132], s[18:19]
	v_mul_f64 v[44:45], v[139:140], s[52:53]
	v_mul_f64 v[42:43], v[141:142], s[22:23]
	v_mul_f64 v[208:209], v[147:148], s[28:29]
	v_fma_f64 v[0:1], v[97:98], s[50:51], v[4:5]
	v_fma_f64 v[4:5], v[97:98], s[52:53], v[4:5]
	;; [unrolled: 1-line block ×4, first 2 shown]
	s_delay_alu instid0(VALU_DEP_4)
	v_add_f64 v[0:1], v[0:1], v[22:23]
	v_dual_mov_b32 v22, v143 :: v_dual_mov_b32 v23, v144
	v_add_f64 v[143:144], v[50:51], -v[38:39]
	v_add_f64 v[4:5], v[4:5], v[6:7]
	v_fma_f64 v[6:7], v[99:100], s[48:49], -v[8:9]
	v_fma_f64 v[8:9], v[101:102], s[38:39], v[10:11]
	v_add_f64 v[109:110], v[22:23], -v[32:33]
	v_add_f64 v[111:112], v[22:23], v[32:33]
	s_clause 0x9
	scratch_store_b64 off, v[22:23], off offset:112
	scratch_store_b64 off, v[32:33], off offset:80
	scratch_store_b64 off, v[66:67], off offset:120
	scratch_store_b64 off, v[77:78], off offset:88
	scratch_store_b64 off, v[24:25], off offset:128
	scratch_store_b64 off, v[48:49], off offset:96
	scratch_store_b64 off, v[58:59], off offset:152
	scratch_store_b64 off, v[54:55], off offset:136
	scratch_store_b64 off, v[52:53], off offset:160
	scratch_store_b64 off, v[64:65], off offset:144
	v_mul_f64 v[38:39], v[147:148], s[38:39]
	v_mul_f64 v[32:33], v[157:158], s[24:25]
	v_add_f64 v[2:3], v[2:3], v[121:122]
	v_add_f64 v[0:1], v[12:13], v[0:1]
	v_mul_f64 v[12:13], v[135:136], s[38:39]
	v_add_f64 v[6:7], v[6:7], v[186:187]
	v_add_f64 v[4:5], v[8:9], v[4:5]
	s_delay_alu instid0(VALU_DEP_3) | instskip(SKIP_2) | instid1(VALU_DEP_3)
	v_fma_f64 v[14:15], v[103:104], s[8:9], v[12:13]
	v_fma_f64 v[8:9], v[103:104], s[8:9], -v[12:13]
	v_mul_f64 v[12:13], v[129:130], s[22:23]
	v_add_f64 v[2:3], v[14:15], v[2:3]
	v_mul_f64 v[14:15], v[137:138], s[24:25]
	s_delay_alu instid0(VALU_DEP_4) | instskip(NEXT) | instid1(VALU_DEP_2)
	v_add_f64 v[6:7], v[8:9], v[6:7]
	v_fma_f64 v[16:17], v[105:106], s[46:47], v[14:15]
	v_fma_f64 v[8:9], v[105:106], s[30:31], v[14:15]
	v_mul_f64 v[14:15], v[131:132], s[28:29]
	s_delay_alu instid0(VALU_DEP_3) | instskip(SKIP_1) | instid1(VALU_DEP_4)
	v_add_f64 v[0:1], v[16:17], v[0:1]
	v_mul_f64 v[16:17], v[139:140], s[30:31]
	v_add_f64 v[4:5], v[8:9], v[4:5]
	s_delay_alu instid0(VALU_DEP_2) | instskip(SKIP_2) | instid1(VALU_DEP_3)
	v_fma_f64 v[18:19], v[107:108], s[24:25], v[16:17]
	v_fma_f64 v[8:9], v[107:108], s[24:25], -v[16:17]
	v_mul_f64 v[16:17], v[133:134], s[12:13]
	v_add_f64 v[2:3], v[18:19], v[2:3]
	v_mul_f64 v[18:19], v[141:142], s[4:5]
	s_delay_alu instid0(VALU_DEP_4) | instskip(NEXT) | instid1(VALU_DEP_2)
	v_add_f64 v[6:7], v[8:9], v[6:7]
	v_fma_f64 v[20:21], v[109:110], s[16:17], v[18:19]
	v_fma_f64 v[8:9], v[109:110], s[40:41], v[18:19]
	;; [unrolled: 1-line block ×4, first 2 shown]
	s_delay_alu instid0(VALU_DEP_4) | instskip(SKIP_2) | instid1(VALU_DEP_2)
	v_add_f64 v[0:1], v[20:21], v[0:1]
	v_mul_f64 v[20:21], v[143:144], s[40:41]
	v_add_f64 v[4:5], v[8:9], v[4:5]
	v_fma_f64 v[22:23], v[111:112], s[4:5], v[20:21]
	v_fma_f64 v[8:9], v[111:112], s[4:5], -v[20:21]
	s_delay_alu instid0(VALU_DEP_2) | instskip(SKIP_1) | instid1(VALU_DEP_3)
	v_add_f64 v[2:3], v[22:23], v[2:3]
	v_mul_f64 v[22:23], v[145:146], s[22:23]
	v_add_f64 v[6:7], v[8:9], v[6:7]
	s_delay_alu instid0(VALU_DEP_2) | instskip(SKIP_1) | instid1(VALU_DEP_2)
	v_fma_f64 v[115:116], v[113:114], s[42:43], v[22:23]
	v_fma_f64 v[8:9], v[113:114], s[28:29], v[22:23]
	v_add_f64 v[0:1], v[115:116], v[0:1]
	v_add_f64 v[115:116], v[24:25], v[48:49]
	s_delay_alu instid0(VALU_DEP_3)
	v_add_f64 v[4:5], v[8:9], v[4:5]
	v_dual_mov_b32 v24, v159 :: v_dual_mov_b32 v25, v160
	v_add_f64 v[159:160], v[95:96], -v[79:80]
	s_clause 0x2
	scratch_store_b64 off, v[79:80], off offset:168
	scratch_store_b64 off, v[60:61], off offset:184
	;; [unrolled: 1-line block ×3, first 2 shown]
	v_add_f64 v[123:124], v[60:61], v[24:25]
	v_fma_f64 v[117:118], v[115:116], s[22:23], v[208:209]
	v_fma_f64 v[8:9], v[115:116], s[22:23], -v[208:209]
	v_mul_f64 v[218:219], v[159:160], s[26:27]
	v_mul_f64 v[30:31], v[159:160], s[30:31]
	s_delay_alu instid0(VALU_DEP_4) | instskip(SKIP_3) | instid1(VALU_DEP_3)
	v_add_f64 v[2:3], v[117:118], v[2:3]
	v_add_f64 v[117:118], v[52:53], -v[64:65]
	v_add_f64 v[6:7], v[8:9], v[6:7]
	v_fma_f64 v[10:11], v[123:124], s[12:13], -v[218:219]
	v_fma_f64 v[119:120], v[117:118], s[14:15], v[210:211]
	v_fma_f64 v[8:9], v[117:118], s[44:45], v[210:211]
	s_delay_alu instid0(VALU_DEP_2) | instskip(SKIP_1) | instid1(VALU_DEP_3)
	v_add_f64 v[0:1], v[119:120], v[0:1]
	v_add_f64 v[119:120], v[52:53], v[64:65]
	;; [unrolled: 1-line block ×3, first 2 shown]
	s_delay_alu instid0(VALU_DEP_2) | instskip(SKIP_1) | instid1(VALU_DEP_2)
	v_fma_f64 v[8:9], v[119:120], s[0:1], -v[212:213]
	v_fma_f64 v[121:122], v[119:120], s[0:1], v[212:213]
	v_add_f64 v[8:9], v[8:9], v[6:7]
	s_delay_alu instid0(VALU_DEP_2) | instskip(SKIP_2) | instid1(VALU_DEP_4)
	v_add_f64 v[214:215], v[121:122], v[2:3]
	v_add_f64 v[121:122], v[60:61], -v[24:25]
	v_mul_f64 v[24:25], v[133:134], s[24:25]
	v_add_f64 v[48:49], v[10:11], v[8:9]
	v_fma_f64 v[8:9], v[97:98], s[42:43], v[12:13]
	v_fma_f64 v[10:11], v[99:100], s[22:23], v[14:15]
	v_fma_f64 v[12:13], v[97:98], s[28:29], v[12:13]
	v_fma_f64 v[14:15], v[99:100], s[22:23], -v[14:15]
	v_fma_f64 v[2:3], v[121:122], s[36:37], v[216:217]
	v_fma_f64 v[6:7], v[121:122], s[26:27], v[216:217]
	v_mul_f64 v[216:217], v[157:158], s[0:1]
	v_add_f64 v[8:9], v[8:9], v[188:189]
	v_add_f64 v[10:11], v[10:11], v[190:191]
	;; [unrolled: 1-line block ×5, first 2 shown]
	v_fma_f64 v[0:1], v[123:124], s[12:13], v[218:219]
	v_mul_f64 v[218:219], v[159:160], s[44:45]
	v_add_f64 v[50:51], v[6:7], v[4:5]
	v_fma_f64 v[6:7], v[109:110], s[42:43], v[42:43]
	v_fma_f64 v[2:3], v[107:108], s[48:49], -v[44:45]
	v_mul_f64 v[4:5], v[153:154], s[48:49]
	v_add_f64 v[8:9], v[18:19], v[8:9]
	v_mul_f64 v[18:19], v[135:136], s[36:37]
	v_add_f64 v[12:13], v[16:17], v[12:13]
	v_add_f64 v[52:53], v[0:1], v[214:215]
	v_mul_f64 v[0:1], v[157:158], s[4:5]
	s_delay_alu instid0(VALU_DEP_4) | instskip(SKIP_2) | instid1(VALU_DEP_3)
	v_fma_f64 v[20:21], v[103:104], s[12:13], v[18:19]
	v_fma_f64 v[16:17], v[103:104], s[12:13], -v[18:19]
	v_fma_f64 v[18:19], v[123:124], s[0:1], -v[218:219]
	v_add_f64 v[10:11], v[20:21], v[10:11]
	v_mul_f64 v[20:21], v[137:138], s[4:5]
	s_delay_alu instid0(VALU_DEP_4) | instskip(NEXT) | instid1(VALU_DEP_2)
	v_add_f64 v[14:15], v[16:17], v[14:15]
	v_fma_f64 v[22:23], v[105:106], s[40:41], v[20:21]
	v_fma_f64 v[16:17], v[105:106], s[16:17], v[20:21]
	v_mul_f64 v[20:21], v[129:130], s[0:1]
	s_delay_alu instid0(VALU_DEP_3) | instskip(SKIP_1) | instid1(VALU_DEP_4)
	v_add_f64 v[8:9], v[22:23], v[8:9]
	v_mul_f64 v[22:23], v[139:140], s[16:17]
	v_add_f64 v[12:13], v[16:17], v[12:13]
	s_delay_alu instid0(VALU_DEP_2) | instskip(SKIP_2) | instid1(VALU_DEP_3)
	v_fma_f64 v[186:187], v[107:108], s[4:5], v[22:23]
	v_fma_f64 v[16:17], v[107:108], s[4:5], -v[22:23]
	v_mul_f64 v[22:23], v[131:132], s[14:15]
	v_add_f64 v[10:11], v[186:187], v[10:11]
	v_mul_f64 v[186:187], v[141:142], s[48:49]
	s_delay_alu instid0(VALU_DEP_4) | instskip(NEXT) | instid1(VALU_DEP_2)
	v_add_f64 v[14:15], v[16:17], v[14:15]
	v_fma_f64 v[188:189], v[109:110], s[52:53], v[186:187]
	v_fma_f64 v[16:17], v[109:110], s[50:51], v[186:187]
	v_mul_f64 v[186:187], v[133:134], s[48:49]
	s_delay_alu instid0(VALU_DEP_3) | instskip(SKIP_1) | instid1(VALU_DEP_4)
	v_add_f64 v[8:9], v[188:189], v[8:9]
	v_mul_f64 v[188:189], v[143:144], s[50:51]
	v_add_f64 v[12:13], v[16:17], v[12:13]
	s_delay_alu instid0(VALU_DEP_2) | instskip(SKIP_3) | instid1(VALU_DEP_4)
	v_fma_f64 v[190:191], v[111:112], s[48:49], v[188:189]
	v_fma_f64 v[16:17], v[111:112], s[48:49], -v[188:189]
	v_fma_f64 v[188:189], v[101:102], s[52:53], v[186:187]
	v_fma_f64 v[186:187], v[101:102], s[50:51], v[186:187]
	v_add_f64 v[10:11], v[190:191], v[10:11]
	v_mul_f64 v[190:191], v[145:146], s[10:11]
	v_add_f64 v[14:15], v[16:17], v[14:15]
	s_delay_alu instid0(VALU_DEP_2) | instskip(SKIP_1) | instid1(VALU_DEP_2)
	v_fma_f64 v[208:209], v[113:114], s[20:21], v[190:191]
	v_fma_f64 v[16:17], v[113:114], s[34:35], v[190:191]
	v_add_f64 v[8:9], v[208:209], v[8:9]
	v_mul_f64 v[208:209], v[147:148], s[34:35]
	s_delay_alu instid0(VALU_DEP_3) | instskip(NEXT) | instid1(VALU_DEP_2)
	v_add_f64 v[12:13], v[16:17], v[12:13]
	v_fma_f64 v[210:211], v[115:116], s[10:11], v[208:209]
	v_fma_f64 v[16:17], v[115:116], s[10:11], -v[208:209]
	s_delay_alu instid0(VALU_DEP_2) | instskip(SKIP_1) | instid1(VALU_DEP_3)
	v_add_f64 v[10:11], v[210:211], v[10:11]
	v_mul_f64 v[210:211], v[153:154], s[24:25]
	v_add_f64 v[14:15], v[16:17], v[14:15]
	s_delay_alu instid0(VALU_DEP_2) | instskip(SKIP_1) | instid1(VALU_DEP_2)
	v_fma_f64 v[212:213], v[117:118], s[46:47], v[210:211]
	v_fma_f64 v[16:17], v[117:118], s[30:31], v[210:211]
	v_add_f64 v[8:9], v[212:213], v[8:9]
	v_mul_f64 v[212:213], v[155:156], s[30:31]
	s_delay_alu instid0(VALU_DEP_3) | instskip(NEXT) | instid1(VALU_DEP_2)
	v_add_f64 v[12:13], v[16:17], v[12:13]
	v_fma_f64 v[16:17], v[119:120], s[24:25], -v[212:213]
	v_fma_f64 v[214:215], v[119:120], s[24:25], v[212:213]
	s_delay_alu instid0(VALU_DEP_2) | instskip(NEXT) | instid1(VALU_DEP_2)
	v_add_f64 v[16:17], v[16:17], v[14:15]
	v_add_f64 v[214:215], v[214:215], v[10:11]
	v_fma_f64 v[10:11], v[121:122], s[14:15], v[216:217]
	v_fma_f64 v[14:15], v[121:122], s[44:45], v[216:217]
	v_mul_f64 v[216:217], v[157:158], s[22:23]
	v_add_f64 v[64:65], v[18:19], v[16:17]
	v_fma_f64 v[16:17], v[97:98], s[44:45], v[20:21]
	v_fma_f64 v[18:19], v[99:100], s[0:1], v[22:23]
	;; [unrolled: 1-line block ×3, first 2 shown]
	v_fma_f64 v[22:23], v[99:100], s[0:1], -v[22:23]
	v_add_f64 v[60:61], v[10:11], v[8:9]
	v_fma_f64 v[8:9], v[123:124], s[0:1], v[218:219]
	v_mul_f64 v[218:219], v[159:160], s[28:29]
	v_fma_f64 v[10:11], v[113:114], s[38:39], v[40:41]
	v_add_f64 v[66:67], v[14:15], v[12:13]
	v_fma_f64 v[14:15], v[117:118], s[16:17], v[36:37]
	v_mul_f64 v[12:13], v[141:142], s[10:11]
	v_add_f64 v[16:17], v[16:17], v[196:197]
	v_add_f64 v[18:19], v[18:19], v[198:199]
	;; [unrolled: 1-line block ×5, first 2 shown]
	v_mul_f64 v[8:9], v[145:146], s[12:13]
	v_add_f64 v[16:17], v[188:189], v[16:17]
	v_mul_f64 v[188:189], v[135:136], s[50:51]
	v_add_f64 v[20:21], v[186:187], v[20:21]
	s_delay_alu instid0(VALU_DEP_2) | instskip(SKIP_2) | instid1(VALU_DEP_3)
	v_fma_f64 v[190:191], v[103:104], s[48:49], v[188:189]
	v_fma_f64 v[186:187], v[103:104], s[48:49], -v[188:189]
	v_fma_f64 v[188:189], v[123:124], s[22:23], -v[218:219]
	v_add_f64 v[18:19], v[190:191], v[18:19]
	v_mul_f64 v[190:191], v[137:138], s[8:9]
	s_delay_alu instid0(VALU_DEP_4) | instskip(NEXT) | instid1(VALU_DEP_2)
	v_add_f64 v[22:23], v[186:187], v[22:23]
	v_fma_f64 v[192:193], v[105:106], s[18:19], v[190:191]
	v_fma_f64 v[186:187], v[105:106], s[38:39], v[190:191]
	v_mul_f64 v[190:191], v[129:130], s[12:13]
	s_delay_alu instid0(VALU_DEP_3) | instskip(SKIP_1) | instid1(VALU_DEP_4)
	v_add_f64 v[16:17], v[192:193], v[16:17]
	v_mul_f64 v[192:193], v[139:140], s[38:39]
	v_add_f64 v[20:21], v[186:187], v[20:21]
	s_delay_alu instid0(VALU_DEP_2) | instskip(SKIP_2) | instid1(VALU_DEP_3)
	v_fma_f64 v[194:195], v[107:108], s[8:9], v[192:193]
	v_fma_f64 v[186:187], v[107:108], s[8:9], -v[192:193]
	v_mul_f64 v[192:193], v[131:132], s[36:37]
	v_add_f64 v[18:19], v[194:195], v[18:19]
	v_mul_f64 v[194:195], v[141:142], s[12:13]
	s_delay_alu instid0(VALU_DEP_4) | instskip(NEXT) | instid1(VALU_DEP_2)
	v_add_f64 v[22:23], v[186:187], v[22:23]
	v_fma_f64 v[196:197], v[109:110], s[36:37], v[194:195]
	v_fma_f64 v[186:187], v[109:110], s[26:27], v[194:195]
	v_mul_f64 v[194:195], v[133:134], s[4:5]
	s_delay_alu instid0(VALU_DEP_3) | instskip(SKIP_1) | instid1(VALU_DEP_4)
	v_add_f64 v[16:17], v[196:197], v[16:17]
	v_mul_f64 v[196:197], v[143:144], s[26:27]
	v_add_f64 v[20:21], v[186:187], v[20:21]
	s_delay_alu instid0(VALU_DEP_2) | instskip(SKIP_2) | instid1(VALU_DEP_3)
	v_fma_f64 v[198:199], v[111:112], s[12:13], v[196:197]
	v_fma_f64 v[186:187], v[111:112], s[12:13], -v[196:197]
	v_fma_f64 v[196:197], v[101:102], s[40:41], v[194:195]
	v_add_f64 v[18:19], v[198:199], v[18:19]
	v_mul_f64 v[198:199], v[145:146], s[24:25]
	s_delay_alu instid0(VALU_DEP_4) | instskip(NEXT) | instid1(VALU_DEP_2)
	v_add_f64 v[22:23], v[186:187], v[22:23]
	v_fma_f64 v[208:209], v[113:114], s[30:31], v[198:199]
	v_fma_f64 v[186:187], v[113:114], s[46:47], v[198:199]
	s_delay_alu instid0(VALU_DEP_2) | instskip(SKIP_1) | instid1(VALU_DEP_3)
	v_add_f64 v[16:17], v[208:209], v[16:17]
	v_mul_f64 v[208:209], v[147:148], s[46:47]
	v_add_f64 v[20:21], v[186:187], v[20:21]
	s_delay_alu instid0(VALU_DEP_2) | instskip(SKIP_1) | instid1(VALU_DEP_2)
	v_fma_f64 v[210:211], v[115:116], s[24:25], v[208:209]
	v_fma_f64 v[186:187], v[115:116], s[24:25], -v[208:209]
	v_add_f64 v[18:19], v[210:211], v[18:19]
	v_mul_f64 v[210:211], v[153:154], s[10:11]
	s_delay_alu instid0(VALU_DEP_3) | instskip(NEXT) | instid1(VALU_DEP_2)
	v_add_f64 v[22:23], v[186:187], v[22:23]
	v_fma_f64 v[212:213], v[117:118], s[20:21], v[210:211]
	v_fma_f64 v[186:187], v[117:118], s[34:35], v[210:211]
	s_delay_alu instid0(VALU_DEP_2) | instskip(SKIP_1) | instid1(VALU_DEP_3)
	v_add_f64 v[16:17], v[212:213], v[16:17]
	v_mul_f64 v[212:213], v[155:156], s[34:35]
	v_add_f64 v[20:21], v[186:187], v[20:21]
	s_delay_alu instid0(VALU_DEP_2) | instskip(SKIP_1) | instid1(VALU_DEP_2)
	v_fma_f64 v[186:187], v[119:120], s[10:11], -v[212:213]
	v_fma_f64 v[214:215], v[119:120], s[10:11], v[212:213]
	v_add_f64 v[186:187], v[186:187], v[22:23]
	s_delay_alu instid0(VALU_DEP_2)
	v_add_f64 v[214:215], v[214:215], v[18:19]
	v_fma_f64 v[18:19], v[121:122], s[42:43], v[216:217]
	v_fma_f64 v[22:23], v[121:122], s[28:29], v[216:217]
	v_mul_f64 v[216:217], v[157:158], s[48:49]
	v_add_f64 v[91:92], v[188:189], v[186:187]
	v_fma_f64 v[186:187], v[97:98], s[36:37], v[190:191]
	v_fma_f64 v[188:189], v[99:100], s[12:13], -v[192:193]
	v_add_f64 v[79:80], v[18:19], v[16:17]
	v_fma_f64 v[16:17], v[123:124], s[22:23], v[218:219]
	v_mul_f64 v[218:219], v[159:160], s[52:53]
	v_fma_f64 v[18:19], v[121:122], s[30:31], v[32:33]
	v_add_f64 v[93:94], v[22:23], v[20:21]
	v_fma_f64 v[22:23], v[99:100], s[8:9], -v[26:27]
	v_mul_f64 v[20:21], v[135:136], s[30:31]
	v_fma_f64 v[26:27], v[99:100], s[8:9], v[26:27]
	v_add_f64 v[186:187], v[186:187], v[204:205]
	v_add_f64 v[188:189], v[188:189], v[206:207]
	;; [unrolled: 1-line block ×3, first 2 shown]
	v_mul_f64 v[16:17], v[137:138], s[22:23]
	v_add_f64 v[22:23], v[22:23], v[173:174]
	v_fma_f64 v[173:174], v[101:102], s[30:31], v[24:25]
	v_fma_f64 v[24:25], v[101:102], s[46:47], v[24:25]
	v_add_f64 v[26:27], v[26:27], v[169:170]
	v_add_f64 v[186:187], v[196:197], v[186:187]
	v_mul_f64 v[196:197], v[135:136], s[40:41]
	s_delay_alu instid0(VALU_DEP_1) | instskip(NEXT) | instid1(VALU_DEP_1)
	v_fma_f64 v[198:199], v[103:104], s[4:5], -v[196:197]
	v_add_f64 v[188:189], v[198:199], v[188:189]
	v_mul_f64 v[198:199], v[137:138], s[10:11]
	s_delay_alu instid0(VALU_DEP_1) | instskip(NEXT) | instid1(VALU_DEP_1)
	v_fma_f64 v[200:201], v[105:106], s[34:35], v[198:199]
	v_add_f64 v[186:187], v[200:201], v[186:187]
	v_mul_f64 v[200:201], v[139:140], s[34:35]
	s_delay_alu instid0(VALU_DEP_1) | instskip(NEXT) | instid1(VALU_DEP_1)
	v_fma_f64 v[202:203], v[107:108], s[10:11], -v[200:201]
	v_add_f64 v[188:189], v[202:203], v[188:189]
	v_mul_f64 v[202:203], v[141:142], s[8:9]
	s_delay_alu instid0(VALU_DEP_1) | instskip(NEXT) | instid1(VALU_DEP_1)
	v_fma_f64 v[204:205], v[109:110], s[18:19], v[202:203]
	v_add_f64 v[186:187], v[204:205], v[186:187]
	v_mul_f64 v[204:205], v[143:144], s[18:19]
	s_delay_alu instid0(VALU_DEP_1) | instskip(NEXT) | instid1(VALU_DEP_1)
	v_fma_f64 v[206:207], v[111:112], s[8:9], -v[204:205]
	v_add_f64 v[188:189], v[206:207], v[188:189]
	v_mul_f64 v[206:207], v[145:146], s[0:1]
	s_delay_alu instid0(VALU_DEP_1) | instskip(NEXT) | instid1(VALU_DEP_1)
	v_fma_f64 v[208:209], v[113:114], s[14:15], v[206:207]
	v_add_f64 v[186:187], v[208:209], v[186:187]
	v_mul_f64 v[208:209], v[147:148], s[14:15]
	s_delay_alu instid0(VALU_DEP_1) | instskip(NEXT) | instid1(VALU_DEP_1)
	v_fma_f64 v[210:211], v[115:116], s[0:1], -v[208:209]
	v_add_f64 v[188:189], v[210:211], v[188:189]
	v_mul_f64 v[210:211], v[153:154], s[22:23]
	s_delay_alu instid0(VALU_DEP_1) | instskip(NEXT) | instid1(VALU_DEP_1)
	v_fma_f64 v[212:213], v[117:118], s[28:29], v[210:211]
	v_add_f64 v[186:187], v[212:213], v[186:187]
	v_mul_f64 v[212:213], v[155:156], s[28:29]
	s_delay_alu instid0(VALU_DEP_1) | instskip(NEXT) | instid1(VALU_DEP_1)
	v_fma_f64 v[214:215], v[119:120], s[22:23], -v[212:213]
	v_add_f64 v[214:215], v[214:215], v[188:189]
	v_fma_f64 v[188:189], v[121:122], s[52:53], v[216:217]
	s_delay_alu instid0(VALU_DEP_1) | instskip(SKIP_1) | instid1(VALU_DEP_1)
	v_add_f64 v[188:189], v[188:189], v[186:187]
	v_fma_f64 v[186:187], v[123:124], s[48:49], -v[218:219]
	v_add_f64 v[186:187], v[186:187], v[214:215]
	v_mul_f64 v[214:215], v[129:130], s[4:5]
	s_delay_alu instid0(VALU_DEP_1) | instskip(NEXT) | instid1(VALU_DEP_1)
	v_fma_f64 v[220:221], v[97:98], s[40:41], v[214:215]
	v_add_f64 v[183:184], v[220:221], v[183:184]
	v_mul_f64 v[220:221], v[131:132], s[40:41]
	s_delay_alu instid0(VALU_DEP_1) | instskip(NEXT) | instid1(VALU_DEP_1)
	v_fma_f64 v[222:223], v[99:100], s[4:5], -v[220:221]
	v_add_f64 v[181:182], v[222:223], v[181:182]
	v_mul_f64 v[222:223], v[133:134], s[10:11]
	s_delay_alu instid0(VALU_DEP_1) | instskip(NEXT) | instid1(VALU_DEP_1)
	v_fma_f64 v[224:225], v[101:102], s[20:21], v[222:223]
	v_add_f64 v[183:184], v[224:225], v[183:184]
	v_mul_f64 v[224:225], v[135:136], s[20:21]
	s_delay_alu instid0(VALU_DEP_1) | instskip(NEXT) | instid1(VALU_DEP_1)
	;; [unrolled: 8-line block ×9, first 2 shown]
	v_fma_f64 v[254:255], v[103:104], s[0:1], -v[252:253]
	v_add_f64 v[177:178], v[254:255], v[177:178]
	v_mul_f64 v[254:255], v[137:138], s[48:49]
	s_delay_alu instid0(VALU_DEP_2) | instskip(NEXT) | instid1(VALU_DEP_2)
	v_add_f64 v[2:3], v[2:3], v[177:178]
	v_fma_f64 v[73:74], v[105:106], s[52:53], v[254:255]
	s_delay_alu instid0(VALU_DEP_1) | instskip(NEXT) | instid1(VALU_DEP_1)
	v_add_f64 v[73:74], v[73:74], v[179:180]
	v_add_f64 v[6:7], v[6:7], v[73:74]
	v_mul_f64 v[73:74], v[143:144], s[42:43]
	s_delay_alu instid0(VALU_DEP_2) | instskip(NEXT) | instid1(VALU_DEP_2)
	v_add_f64 v[6:7], v[10:11], v[6:7]
	v_fma_f64 v[177:178], v[111:112], s[22:23], -v[73:74]
	v_mul_f64 v[10:11], v[143:144], s[34:35]
	s_delay_alu instid0(VALU_DEP_3) | instskip(NEXT) | instid1(VALU_DEP_3)
	v_add_f64 v[6:7], v[14:15], v[6:7]
	v_add_f64 v[2:3], v[177:178], v[2:3]
	v_fma_f64 v[177:178], v[115:116], s[8:9], -v[38:39]
	v_mul_f64 v[14:15], v[139:140], s[42:43]
	s_delay_alu instid0(VALU_DEP_4) | instskip(SKIP_1) | instid1(VALU_DEP_4)
	v_add_f64 v[179:180], v[18:19], v[6:7]
	v_fma_f64 v[18:19], v[123:124], s[24:25], -v[30:31]
	v_add_f64 v[2:3], v[177:178], v[2:3]
	v_fma_f64 v[177:178], v[119:120], s[4:5], -v[34:35]
	v_mul_f64 v[6:7], v[147:148], s[26:27]
	s_delay_alu instid0(VALU_DEP_2) | instskip(NEXT) | instid1(VALU_DEP_1)
	v_add_f64 v[2:3], v[177:178], v[2:3]
	v_add_f64 v[177:178], v[18:19], v[2:3]
	v_fma_f64 v[18:19], v[97:98], s[18:19], v[28:29]
	v_mul_f64 v[2:3], v[155:156], s[50:51]
	s_delay_alu instid0(VALU_DEP_2) | instskip(NEXT) | instid1(VALU_DEP_1)
	v_add_f64 v[18:19], v[18:19], v[175:176]
	v_add_f64 v[18:19], v[173:174], v[18:19]
	v_fma_f64 v[173:174], v[103:104], s[24:25], -v[20:21]
	v_fma_f64 v[20:21], v[103:104], s[24:25], v[20:21]
	s_delay_alu instid0(VALU_DEP_2) | instskip(SKIP_2) | instid1(VALU_DEP_4)
	v_add_f64 v[22:23], v[173:174], v[22:23]
	v_fma_f64 v[173:174], v[105:106], s[42:43], v[16:17]
	v_fma_f64 v[16:17], v[105:106], s[28:29], v[16:17]
	v_add_f64 v[20:21], v[20:21], v[26:27]
	s_delay_alu instid0(VALU_DEP_3) | instskip(SKIP_2) | instid1(VALU_DEP_2)
	v_add_f64 v[18:19], v[173:174], v[18:19]
	v_fma_f64 v[173:174], v[107:108], s[22:23], -v[14:15]
	v_fma_f64 v[14:15], v[107:108], s[22:23], v[14:15]
	v_add_f64 v[22:23], v[173:174], v[22:23]
	v_fma_f64 v[173:174], v[109:110], s[34:35], v[12:13]
	v_fma_f64 v[12:13], v[109:110], s[20:21], v[12:13]
	s_delay_alu instid0(VALU_DEP_4) | instskip(NEXT) | instid1(VALU_DEP_3)
	v_add_f64 v[14:15], v[14:15], v[20:21]
	v_add_f64 v[18:19], v[173:174], v[18:19]
	v_fma_f64 v[173:174], v[111:112], s[10:11], -v[10:11]
	v_fma_f64 v[10:11], v[111:112], s[10:11], v[10:11]
	s_delay_alu instid0(VALU_DEP_2) | instskip(SKIP_2) | instid1(VALU_DEP_4)
	v_add_f64 v[22:23], v[173:174], v[22:23]
	v_fma_f64 v[173:174], v[113:114], s[26:27], v[8:9]
	v_fma_f64 v[8:9], v[113:114], s[36:37], v[8:9]
	v_add_f64 v[10:11], v[10:11], v[14:15]
	s_delay_alu instid0(VALU_DEP_3) | instskip(SKIP_2) | instid1(VALU_DEP_2)
	v_add_f64 v[18:19], v[173:174], v[18:19]
	v_fma_f64 v[173:174], v[115:116], s[12:13], -v[6:7]
	v_fma_f64 v[6:7], v[115:116], s[12:13], v[6:7]
	v_add_f64 v[22:23], v[173:174], v[22:23]
	v_fma_f64 v[173:174], v[117:118], s[50:51], v[4:5]
	v_fma_f64 v[4:5], v[117:118], s[52:53], v[4:5]
	s_delay_alu instid0(VALU_DEP_4) | instskip(NEXT) | instid1(VALU_DEP_3)
	v_add_f64 v[6:7], v[6:7], v[10:11]
	v_add_f64 v[18:19], v[173:174], v[18:19]
	v_fma_f64 v[173:174], v[119:120], s[48:49], -v[2:3]
	v_fma_f64 v[2:3], v[119:120], s[48:49], v[2:3]
	s_delay_alu instid0(VALU_DEP_2) | instskip(SKIP_2) | instid1(VALU_DEP_4)
	v_add_f64 v[22:23], v[173:174], v[22:23]
	v_fma_f64 v[173:174], v[121:122], s[40:41], v[0:1]
	v_fma_f64 v[0:1], v[121:122], s[16:17], v[0:1]
	v_add_f64 v[2:3], v[2:3], v[6:7]
	s_delay_alu instid0(VALU_DEP_3) | instskip(SKIP_1) | instid1(VALU_DEP_1)
	v_add_f64 v[175:176], v[173:174], v[18:19]
	v_mul_f64 v[18:19], v[159:160], s[40:41]
	v_fma_f64 v[173:174], v[123:124], s[4:5], -v[18:19]
	v_fma_f64 v[6:7], v[123:124], s[4:5], v[18:19]
	s_delay_alu instid0(VALU_DEP_2) | instskip(SKIP_1) | instid1(VALU_DEP_3)
	v_add_f64 v[173:174], v[173:174], v[22:23]
	v_fma_f64 v[22:23], v[97:98], s[38:39], v[28:29]
	v_add_f64 v[169:170], v[6:7], v[2:3]
	v_fma_f64 v[2:3], v[99:100], s[10:11], v[248:249]
	v_fma_f64 v[6:7], v[123:124], s[24:25], v[30:31]
	v_mul_f64 v[28:29], v[153:154], s[8:9]
	v_mul_f64 v[30:31], v[155:156], s[38:39]
	v_add_f64 v[22:23], v[22:23], v[171:172]
	v_add_f64 v[2:3], v[2:3], v[165:166]
	s_delay_alu instid0(VALU_DEP_2) | instskip(NEXT) | instid1(VALU_DEP_1)
	v_add_f64 v[22:23], v[24:25], v[22:23]
	v_add_f64 v[16:17], v[16:17], v[22:23]
	s_delay_alu instid0(VALU_DEP_1) | instskip(NEXT) | instid1(VALU_DEP_1)
	v_add_f64 v[12:13], v[12:13], v[16:17]
	v_add_f64 v[8:9], v[8:9], v[12:13]
	s_delay_alu instid0(VALU_DEP_1) | instskip(SKIP_1) | instid1(VALU_DEP_2)
	v_add_f64 v[4:5], v[4:5], v[8:9]
	v_mul_f64 v[8:9], v[133:134], s[22:23]
	v_add_f64 v[171:172], v[0:1], v[4:5]
	v_fma_f64 v[0:1], v[97:98], s[20:21], v[246:247]
	v_fma_f64 v[4:5], v[101:102], s[44:45], v[250:251]
	s_delay_alu instid0(VALU_DEP_4) | instskip(NEXT) | instid1(VALU_DEP_3)
	v_fma_f64 v[10:11], v[101:102], s[42:43], v[8:9]
	v_add_f64 v[0:1], v[0:1], v[167:168]
	s_delay_alu instid0(VALU_DEP_1) | instskip(SKIP_1) | instid1(VALU_DEP_1)
	v_add_f64 v[0:1], v[4:5], v[0:1]
	v_fma_f64 v[4:5], v[103:104], s[0:1], v[252:253]
	v_add_f64 v[2:3], v[4:5], v[2:3]
	v_fma_f64 v[4:5], v[105:106], s[50:51], v[254:255]
	s_delay_alu instid0(VALU_DEP_1) | instskip(SKIP_1) | instid1(VALU_DEP_1)
	v_add_f64 v[0:1], v[4:5], v[0:1]
	v_fma_f64 v[4:5], v[107:108], s[48:49], v[44:45]
	v_add_f64 v[2:3], v[4:5], v[2:3]
	v_fma_f64 v[4:5], v[109:110], s[28:29], v[42:43]
	;; [unrolled: 5-line block ×4, first 2 shown]
	s_delay_alu instid0(VALU_DEP_1) | instskip(SKIP_2) | instid1(VALU_DEP_2)
	v_add_f64 v[0:1], v[4:5], v[0:1]
	v_fma_f64 v[4:5], v[119:120], s[4:5], v[34:35]
	v_mul_f64 v[34:35], v[159:160], s[34:35]
	v_add_f64 v[2:3], v[4:5], v[2:3]
	v_fma_f64 v[4:5], v[121:122], s[46:47], v[32:33]
	v_mul_f64 v[32:33], v[157:158], s[10:11]
	s_delay_alu instid0(VALU_DEP_3) | instskip(NEXT) | instid1(VALU_DEP_3)
	v_add_f64 v[165:166], v[6:7], v[2:3]
	v_add_f64 v[167:168], v[4:5], v[0:1]
	v_fma_f64 v[0:1], v[97:98], s[16:17], v[214:215]
	v_fma_f64 v[2:3], v[99:100], s[4:5], v[220:221]
	;; [unrolled: 1-line block ×4, first 2 shown]
	s_delay_alu instid0(VALU_DEP_4) | instskip(NEXT) | instid1(VALU_DEP_4)
	v_add_f64 v[0:1], v[0:1], v[163:164]
	v_add_f64 v[2:3], v[2:3], v[161:162]
	s_delay_alu instid0(VALU_DEP_2) | instskip(SKIP_1) | instid1(VALU_DEP_1)
	v_add_f64 v[0:1], v[4:5], v[0:1]
	v_fma_f64 v[4:5], v[103:104], s[10:11], v[224:225]
	v_add_f64 v[2:3], v[4:5], v[2:3]
	v_fma_f64 v[4:5], v[105:106], s[44:45], v[226:227]
	s_delay_alu instid0(VALU_DEP_1) | instskip(SKIP_1) | instid1(VALU_DEP_1)
	v_add_f64 v[0:1], v[4:5], v[0:1]
	v_fma_f64 v[4:5], v[107:108], s[0:1], v[228:229]
	v_add_f64 v[2:3], v[4:5], v[2:3]
	v_fma_f64 v[4:5], v[109:110], s[46:47], v[230:231]
	s_delay_alu instid0(VALU_DEP_1) | instskip(SKIP_1) | instid1(VALU_DEP_1)
	;; [unrolled: 5-line block ×4, first 2 shown]
	v_add_f64 v[0:1], v[4:5], v[0:1]
	v_fma_f64 v[4:5], v[119:120], s[12:13], v[240:241]
	v_add_f64 v[2:3], v[4:5], v[2:3]
	v_fma_f64 v[4:5], v[121:122], s[18:19], v[242:243]
	s_delay_alu instid0(VALU_DEP_2) | instskip(NEXT) | instid1(VALU_DEP_2)
	v_add_f64 v[161:162], v[6:7], v[2:3]
	v_add_f64 v[163:164], v[4:5], v[0:1]
	v_fma_f64 v[0:1], v[97:98], s[26:27], v[190:191]
	v_fma_f64 v[2:3], v[99:100], s[12:13], v[192:193]
	;; [unrolled: 1-line block ×4, first 2 shown]
	s_delay_alu instid0(VALU_DEP_4) | instskip(NEXT) | instid1(VALU_DEP_4)
	v_add_f64 v[0:1], v[0:1], v[151:152]
	v_add_f64 v[2:3], v[2:3], v[149:150]
	s_delay_alu instid0(VALU_DEP_2) | instskip(SKIP_1) | instid1(VALU_DEP_1)
	v_add_f64 v[0:1], v[4:5], v[0:1]
	v_fma_f64 v[4:5], v[103:104], s[4:5], v[196:197]
	v_add_f64 v[2:3], v[4:5], v[2:3]
	v_fma_f64 v[4:5], v[105:106], s[20:21], v[198:199]
	s_delay_alu instid0(VALU_DEP_1) | instskip(SKIP_1) | instid1(VALU_DEP_1)
	v_add_f64 v[0:1], v[4:5], v[0:1]
	v_fma_f64 v[4:5], v[107:108], s[10:11], v[200:201]
	v_add_f64 v[2:3], v[4:5], v[2:3]
	v_fma_f64 v[4:5], v[109:110], s[38:39], v[202:203]
	s_delay_alu instid0(VALU_DEP_1) | instskip(SKIP_1) | instid1(VALU_DEP_1)
	;; [unrolled: 5-line block ×4, first 2 shown]
	v_add_f64 v[0:1], v[4:5], v[0:1]
	v_fma_f64 v[4:5], v[119:120], s[22:23], v[212:213]
	v_add_f64 v[2:3], v[4:5], v[2:3]
	v_fma_f64 v[4:5], v[121:122], s[50:51], v[216:217]
	s_delay_alu instid0(VALU_DEP_2) | instskip(NEXT) | instid1(VALU_DEP_2)
	v_add_f64 v[149:150], v[6:7], v[2:3]
	v_add_f64 v[151:152], v[4:5], v[0:1]
	v_mul_f64 v[0:1], v[129:130], s[24:25]
	v_mul_f64 v[4:5], v[131:132], s[46:47]
	s_delay_alu instid0(VALU_DEP_2) | instskip(NEXT) | instid1(VALU_DEP_2)
	v_fma_f64 v[2:3], v[97:98], s[46:47], v[0:1]
	v_fma_f64 v[6:7], v[99:100], s[24:25], -v[4:5]
	v_fma_f64 v[0:1], v[97:98], s[30:31], v[0:1]
	s_delay_alu instid0(VALU_DEP_3) | instskip(NEXT) | instid1(VALU_DEP_3)
	v_add_f64 v[2:3], v[2:3], v[127:128]
	v_add_f64 v[6:7], v[6:7], v[125:126]
	s_delay_alu instid0(VALU_DEP_2) | instskip(SKIP_1) | instid1(VALU_DEP_1)
	v_add_f64 v[2:3], v[10:11], v[2:3]
	v_mul_f64 v[10:11], v[135:136], s[42:43]
	v_fma_f64 v[12:13], v[103:104], s[22:23], -v[10:11]
	s_delay_alu instid0(VALU_DEP_1) | instskip(SKIP_1) | instid1(VALU_DEP_1)
	v_add_f64 v[6:7], v[12:13], v[6:7]
	v_mul_f64 v[12:13], v[137:138], s[12:13]
	v_fma_f64 v[14:15], v[105:106], s[36:37], v[12:13]
	s_delay_alu instid0(VALU_DEP_1) | instskip(SKIP_1) | instid1(VALU_DEP_1)
	v_add_f64 v[2:3], v[14:15], v[2:3]
	v_mul_f64 v[14:15], v[139:140], s[36:37]
	v_fma_f64 v[16:17], v[107:108], s[12:13], -v[14:15]
	s_delay_alu instid0(VALU_DEP_1) | instskip(SKIP_1) | instid1(VALU_DEP_1)
	v_add_f64 v[6:7], v[16:17], v[6:7]
	v_mul_f64 v[16:17], v[141:142], s[0:1]
	v_fma_f64 v[18:19], v[109:110], s[44:45], v[16:17]
	s_delay_alu instid0(VALU_DEP_1) | instskip(SKIP_1) | instid1(VALU_DEP_1)
	;; [unrolled: 8-line block ×3, first 2 shown]
	v_add_f64 v[2:3], v[22:23], v[2:3]
	v_mul_f64 v[22:23], v[147:148], s[40:41]
	v_fma_f64 v[24:25], v[115:116], s[4:5], -v[22:23]
	s_delay_alu instid0(VALU_DEP_1) | instskip(SKIP_1) | instid1(VALU_DEP_1)
	v_add_f64 v[6:7], v[24:25], v[6:7]
	v_fma_f64 v[24:25], v[117:118], s[38:39], v[28:29]
	v_add_f64 v[2:3], v[24:25], v[2:3]
	v_fma_f64 v[24:25], v[119:120], s[8:9], -v[30:31]
	s_delay_alu instid0(VALU_DEP_1) | instskip(SKIP_1) | instid1(VALU_DEP_1)
	v_add_f64 v[6:7], v[24:25], v[6:7]
	v_fma_f64 v[24:25], v[121:122], s[34:35], v[32:33]
	v_add_f64 v[127:128], v[24:25], v[2:3]
	v_fma_f64 v[2:3], v[123:124], s[10:11], -v[34:35]
	scratch_load_b64 v[24:25], off, off offset:104 ; 8-byte Folded Reload
	v_add_f64 v[125:126], v[2:3], v[6:7]
	s_clause 0x1
	scratch_load_b64 v[2:3], off, off offset:16
	scratch_load_b64 v[6:7], off, off offset:40
	s_waitcnt vmcnt(1)
	v_add_f64 v[2:3], v[2:3], v[87:88]
	s_waitcnt vmcnt(0)
	v_add_f64 v[6:7], v[6:7], v[89:90]
	s_delay_alu instid0(VALU_DEP_2) | instskip(NEXT) | instid1(VALU_DEP_2)
	v_add_f64 v[2:3], v[2:3], v[81:82]
	v_add_f64 v[6:7], v[6:7], v[85:86]
	s_delay_alu instid0(VALU_DEP_2) | instskip(NEXT) | instid1(VALU_DEP_2)
	v_add_f64 v[2:3], v[2:3], v[46:47]
	v_add_f64 v[6:7], v[6:7], v[83:84]
	s_delay_alu instid0(VALU_DEP_2)
	v_add_f64 v[2:3], v[2:3], v[24:25]
	scratch_load_b64 v[24:25], off, off offset:112 ; 8-byte Folded Reload
	s_waitcnt vmcnt(0)
	v_add_f64 v[6:7], v[6:7], v[24:25]
	scratch_load_b64 v[24:25], off, off offset:120 ; 8-byte Folded Reload
	s_waitcnt vmcnt(0)
	;; [unrolled: 3-line block ×4, first 2 shown]
	v_add_f64 v[2:3], v[2:3], v[24:25]
	scratch_load_b64 v[24:25], off, off offset:160 ; 8-byte Folded Reload
	v_add_f64 v[2:3], v[2:3], v[95:96]
	s_waitcnt vmcnt(0)
	v_add_f64 v[6:7], v[6:7], v[24:25]
	scratch_load_b64 v[24:25], off, off offset:184 ; 8-byte Folded Reload
	s_waitcnt vmcnt(0)
	v_add_f64 v[6:7], v[6:7], v[24:25]
	scratch_load_b64 v[24:25], off, off offset:168 ; 8-byte Folded Reload
	;; [unrolled: 3-line block ×12, first 2 shown]
	v_add_f64 v[6:7], v[6:7], v[75:76]
	s_delay_alu instid0(VALU_DEP_1)
	v_add_f64 v[6:7], v[6:7], v[56:57]
	s_waitcnt vmcnt(0)
	v_add_f64 v[2:3], v[2:3], v[24:25]
	scratch_load_b64 v[24:25], off, off     ; 8-byte Folded Reload
	v_add_f64 v[2:3], v[2:3], v[62:63]
	s_waitcnt vmcnt(0)
	s_delay_alu instid0(VALU_DEP_1)
	v_add_f64 v[26:27], v[2:3], v[24:25]
	scratch_load_b64 v[2:3], off, off offset:8 ; 8-byte Folded Reload
	s_waitcnt vmcnt(0)
	v_add_f64 v[24:25], v[6:7], v[2:3]
	v_fma_f64 v[2:3], v[99:100], s[24:25], v[4:5]
	v_fma_f64 v[4:5], v[101:102], s[28:29], v[8:9]
	scratch_load_b64 v[8:9], off, off offset:24 ; 8-byte Folded Reload
	v_fma_f64 v[6:7], v[103:104], s[22:23], v[10:11]
	v_fma_f64 v[10:11], v[107:108], s[12:13], v[14:15]
	s_waitcnt vmcnt(0)
	v_add_f64 v[0:1], v[0:1], v[8:9]
	scratch_load_b64 v[8:9], off, off offset:32 ; 8-byte Folded Reload
	v_add_f64 v[0:1], v[4:5], v[0:1]
	v_fma_f64 v[4:5], v[109:110], s[14:15], v[16:17]
	s_waitcnt vmcnt(0)
	v_add_f64 v[2:3], v[2:3], v[8:9]
	v_fma_f64 v[8:9], v[105:106], s[26:27], v[12:13]
	s_delay_alu instid0(VALU_DEP_2) | instskip(SKIP_1) | instid1(VALU_DEP_3)
	v_add_f64 v[2:3], v[6:7], v[2:3]
	v_fma_f64 v[6:7], v[111:112], s[0:1], v[18:19]
	v_add_f64 v[0:1], v[8:9], v[0:1]
	v_fma_f64 v[8:9], v[113:114], s[16:17], v[20:21]
	s_delay_alu instid0(VALU_DEP_4) | instskip(SKIP_1) | instid1(VALU_DEP_4)
	v_add_f64 v[2:3], v[10:11], v[2:3]
	v_fma_f64 v[10:11], v[115:116], s[4:5], v[22:23]
	v_add_f64 v[0:1], v[4:5], v[0:1]
	v_fma_f64 v[4:5], v[117:118], s[18:19], v[28:29]
	s_delay_alu instid0(VALU_DEP_4) | instskip(SKIP_1) | instid1(VALU_DEP_4)
	;; [unrolled: 5-line block ×3, first 2 shown]
	v_add_f64 v[2:3], v[10:11], v[2:3]
	v_fma_f64 v[10:11], v[123:124], s[10:11], v[34:35]
	v_add_f64 v[0:1], v[4:5], v[0:1]
	s_delay_alu instid0(VALU_DEP_3) | instskip(NEXT) | instid1(VALU_DEP_2)
	v_add_f64 v[2:3], v[6:7], v[2:3]
	v_add_f64 v[30:31], v[8:9], v[0:1]
	s_delay_alu instid0(VALU_DEP_2)
	v_add_f64 v[28:29], v[10:11], v[2:3]
	ds_store_b128 v185, v[186:189] offset:1600
	ds_store_b128 v185, v[181:184] offset:2400
	;; [unrolled: 1-line block ×15, first 2 shown]
	ds_store_b128 v185, v[24:27]
	ds_store_b128 v185, v[28:31] offset:12800
.LBB0_23:
	s_or_b32 exec_lo, exec_lo, s33
	s_waitcnt lgkmcnt(0)
	s_waitcnt_vscnt null, 0x0
	s_barrier
	buffer_gl0_inv
	s_and_saveexec_b32 s0, vcc_lo
	s_cbranch_execz .LBB0_25
; %bb.24:
	v_mul_lo_u32 v2, s3, v70
	v_mul_lo_u32 v3, s2, v71
	v_mad_u64_u32 v[0:1], null, s2, v70, 0
	v_dual_mov_b32 v73, 0 :: v_dual_add_nc_u32 v10, 0x55, v72
	v_lshlrev_b64 v[8:9], 4, v[68:69]
	v_lshl_add_u32 v34, v72, 4, 0
	s_delay_alu instid0(VALU_DEP_3) | instskip(SKIP_4) | instid1(VALU_DEP_4)
	v_dual_mov_b32 v11, v73 :: v_dual_add_nc_u32 v12, 0xaa, v72
	v_add3_u32 v1, v1, v3, v2
	v_lshlrev_b64 v[14:15], 4, v[72:73]
	v_dual_mov_b32 v13, v73 :: v_dual_add_nc_u32 v22, 0xff, v72
	v_dual_mov_b32 v23, v73 :: v_dual_add_nc_u32 v24, 0x154, v72
	v_lshlrev_b64 v[16:17], 4, v[0:1]
	ds_load_b128 v[0:3], v34
	ds_load_b128 v[4:7], v34 offset:1360
	v_mov_b32_e32 v25, v73
	v_lshlrev_b64 v[22:23], 4, v[22:23]
	v_add_co_u32 v18, vcc_lo, s6, v16
	v_add_co_ci_u32_e32 v19, vcc_lo, s7, v17, vcc_lo
	v_lshlrev_b64 v[16:17], 4, v[10:11]
	s_delay_alu instid0(VALU_DEP_3) | instskip(NEXT) | instid1(VALU_DEP_3)
	v_add_co_u32 v36, vcc_lo, v18, v8
	v_add_co_ci_u32_e32 v37, vcc_lo, v19, v9, vcc_lo
	v_lshlrev_b64 v[18:19], 4, v[12:13]
	s_delay_alu instid0(VALU_DEP_3) | instskip(NEXT) | instid1(VALU_DEP_3)
	v_add_co_u32 v20, vcc_lo, v36, v14
	v_add_co_ci_u32_e32 v21, vcc_lo, v37, v15, vcc_lo
	ds_load_b128 v[8:11], v34 offset:2720
	ds_load_b128 v[12:15], v34 offset:4080
	v_add_co_u32 v16, vcc_lo, v36, v16
	v_add_co_ci_u32_e32 v17, vcc_lo, v37, v17, vcc_lo
	v_add_co_u32 v18, vcc_lo, v36, v18
	v_add_co_ci_u32_e32 v19, vcc_lo, v37, v19, vcc_lo
	v_add_co_u32 v22, vcc_lo, v36, v22
	s_waitcnt lgkmcnt(3)
	global_store_b128 v[20:21], v[0:3], off
	s_waitcnt lgkmcnt(2)
	global_store_b128 v[16:17], v[4:7], off
	v_dual_mov_b32 v3, v73 :: v_dual_add_nc_u32 v2, 0x1a9, v72
	v_add_co_ci_u32_e32 v23, vcc_lo, v37, v23, vcc_lo
	v_lshlrev_b64 v[0:1], 4, v[24:25]
	s_waitcnt lgkmcnt(1)
	global_store_b128 v[18:19], v[8:11], off
	s_waitcnt lgkmcnt(0)
	global_store_b128 v[22:23], v[12:15], off
	v_add_nc_u32_e32 v10, 0x1fe, v72
	v_lshlrev_b64 v[8:9], 4, v[2:3]
	v_add_co_u32 v24, vcc_lo, v36, v0
	v_dual_mov_b32 v11, v73 :: v_dual_add_nc_u32 v16, 0x253, v72
	v_add_co_ci_u32_e32 v25, vcc_lo, v37, v1, vcc_lo
	s_delay_alu instid0(VALU_DEP_4) | instskip(SKIP_1) | instid1(VALU_DEP_4)
	v_add_co_u32 v26, vcc_lo, v36, v8
	v_add_co_ci_u32_e32 v27, vcc_lo, v37, v9, vcc_lo
	v_lshlrev_b64 v[8:9], 4, v[10:11]
	v_dual_mov_b32 v17, v73 :: v_dual_add_nc_u32 v18, 0x2a8, v72
	v_dual_mov_b32 v19, v73 :: v_dual_add_nc_u32 v72, 0x2fd, v72
	ds_load_b128 v[0:3], v34 offset:5440
	ds_load_b128 v[4:7], v34 offset:6800
	v_add_co_u32 v28, vcc_lo, v36, v8
	v_add_co_ci_u32_e32 v29, vcc_lo, v37, v9, vcc_lo
	ds_load_b128 v[8:11], v34 offset:8160
	ds_load_b128 v[12:15], v34 offset:9520
	v_lshlrev_b64 v[30:31], 4, v[16:17]
	v_lshlrev_b64 v[32:33], 4, v[18:19]
	ds_load_b128 v[16:19], v34 offset:10880
	ds_load_b128 v[20:23], v34 offset:12240
	v_lshlrev_b64 v[34:35], 4, v[72:73]
	v_add_co_u32 v30, vcc_lo, v36, v30
	v_add_co_ci_u32_e32 v31, vcc_lo, v37, v31, vcc_lo
	v_add_co_u32 v32, vcc_lo, v36, v32
	v_add_co_ci_u32_e32 v33, vcc_lo, v37, v33, vcc_lo
	;; [unrolled: 2-line block ×3, first 2 shown]
	s_waitcnt lgkmcnt(5)
	global_store_b128 v[24:25], v[0:3], off
	s_waitcnt lgkmcnt(4)
	global_store_b128 v[26:27], v[4:7], off
	;; [unrolled: 2-line block ×6, first 2 shown]
.LBB0_25:
	s_nop 0
	s_sendmsg sendmsg(MSG_DEALLOC_VGPRS)
	s_endpgm
	.section	.rodata,"a",@progbits
	.p2align	6, 0x0
	.amdhsa_kernel fft_rtc_fwd_len850_factors_10_5_17_wgs_85_tpt_85_dp_op_CI_CI_unitstride_sbrr_C2R_dirReg
		.amdhsa_group_segment_fixed_size 0
		.amdhsa_private_segment_fixed_size 196
		.amdhsa_kernarg_size 104
		.amdhsa_user_sgpr_count 15
		.amdhsa_user_sgpr_dispatch_ptr 0
		.amdhsa_user_sgpr_queue_ptr 0
		.amdhsa_user_sgpr_kernarg_segment_ptr 1
		.amdhsa_user_sgpr_dispatch_id 0
		.amdhsa_user_sgpr_private_segment_size 0
		.amdhsa_wavefront_size32 1
		.amdhsa_uses_dynamic_stack 0
		.amdhsa_enable_private_segment 1
		.amdhsa_system_sgpr_workgroup_id_x 1
		.amdhsa_system_sgpr_workgroup_id_y 0
		.amdhsa_system_sgpr_workgroup_id_z 0
		.amdhsa_system_sgpr_workgroup_info 0
		.amdhsa_system_vgpr_workitem_id 0
		.amdhsa_next_free_vgpr 256
		.amdhsa_next_free_sgpr 54
		.amdhsa_reserve_vcc 1
		.amdhsa_float_round_mode_32 0
		.amdhsa_float_round_mode_16_64 0
		.amdhsa_float_denorm_mode_32 3
		.amdhsa_float_denorm_mode_16_64 3
		.amdhsa_dx10_clamp 1
		.amdhsa_ieee_mode 1
		.amdhsa_fp16_overflow 0
		.amdhsa_workgroup_processor_mode 1
		.amdhsa_memory_ordered 1
		.amdhsa_forward_progress 0
		.amdhsa_shared_vgpr_count 0
		.amdhsa_exception_fp_ieee_invalid_op 0
		.amdhsa_exception_fp_denorm_src 0
		.amdhsa_exception_fp_ieee_div_zero 0
		.amdhsa_exception_fp_ieee_overflow 0
		.amdhsa_exception_fp_ieee_underflow 0
		.amdhsa_exception_fp_ieee_inexact 0
		.amdhsa_exception_int_div_zero 0
	.end_amdhsa_kernel
	.text
.Lfunc_end0:
	.size	fft_rtc_fwd_len850_factors_10_5_17_wgs_85_tpt_85_dp_op_CI_CI_unitstride_sbrr_C2R_dirReg, .Lfunc_end0-fft_rtc_fwd_len850_factors_10_5_17_wgs_85_tpt_85_dp_op_CI_CI_unitstride_sbrr_C2R_dirReg
                                        ; -- End function
	.section	.AMDGPU.csdata,"",@progbits
; Kernel info:
; codeLenInByte = 14916
; NumSgprs: 56
; NumVgprs: 256
; ScratchSize: 196
; MemoryBound: 0
; FloatMode: 240
; IeeeMode: 1
; LDSByteSize: 0 bytes/workgroup (compile time only)
; SGPRBlocks: 6
; VGPRBlocks: 31
; NumSGPRsForWavesPerEU: 56
; NumVGPRsForWavesPerEU: 256
; Occupancy: 5
; WaveLimiterHint : 1
; COMPUTE_PGM_RSRC2:SCRATCH_EN: 1
; COMPUTE_PGM_RSRC2:USER_SGPR: 15
; COMPUTE_PGM_RSRC2:TRAP_HANDLER: 0
; COMPUTE_PGM_RSRC2:TGID_X_EN: 1
; COMPUTE_PGM_RSRC2:TGID_Y_EN: 0
; COMPUTE_PGM_RSRC2:TGID_Z_EN: 0
; COMPUTE_PGM_RSRC2:TIDIG_COMP_CNT: 0
	.text
	.p2alignl 7, 3214868480
	.fill 96, 4, 3214868480
	.type	__hip_cuid_dcb8fb63735c2578,@object ; @__hip_cuid_dcb8fb63735c2578
	.section	.bss,"aw",@nobits
	.globl	__hip_cuid_dcb8fb63735c2578
__hip_cuid_dcb8fb63735c2578:
	.byte	0                               ; 0x0
	.size	__hip_cuid_dcb8fb63735c2578, 1

	.ident	"AMD clang version 19.0.0git (https://github.com/RadeonOpenCompute/llvm-project roc-6.4.0 25133 c7fe45cf4b819c5991fe208aaa96edf142730f1d)"
	.section	".note.GNU-stack","",@progbits
	.addrsig
	.addrsig_sym __hip_cuid_dcb8fb63735c2578
	.amdgpu_metadata
---
amdhsa.kernels:
  - .args:
      - .actual_access:  read_only
        .address_space:  global
        .offset:         0
        .size:           8
        .value_kind:     global_buffer
      - .offset:         8
        .size:           8
        .value_kind:     by_value
      - .actual_access:  read_only
        .address_space:  global
        .offset:         16
        .size:           8
        .value_kind:     global_buffer
      - .actual_access:  read_only
        .address_space:  global
        .offset:         24
        .size:           8
        .value_kind:     global_buffer
      - .actual_access:  read_only
        .address_space:  global
        .offset:         32
        .size:           8
        .value_kind:     global_buffer
      - .offset:         40
        .size:           8
        .value_kind:     by_value
      - .actual_access:  read_only
        .address_space:  global
        .offset:         48
        .size:           8
        .value_kind:     global_buffer
      - .actual_access:  read_only
        .address_space:  global
        .offset:         56
        .size:           8
        .value_kind:     global_buffer
      - .offset:         64
        .size:           4
        .value_kind:     by_value
      - .actual_access:  read_only
        .address_space:  global
        .offset:         72
        .size:           8
        .value_kind:     global_buffer
      - .actual_access:  read_only
        .address_space:  global
        .offset:         80
        .size:           8
        .value_kind:     global_buffer
      - .actual_access:  read_only
        .address_space:  global
        .offset:         88
        .size:           8
        .value_kind:     global_buffer
      - .actual_access:  write_only
        .address_space:  global
        .offset:         96
        .size:           8
        .value_kind:     global_buffer
    .group_segment_fixed_size: 0
    .kernarg_segment_align: 8
    .kernarg_segment_size: 104
    .language:       OpenCL C
    .language_version:
      - 2
      - 0
    .max_flat_workgroup_size: 85
    .name:           fft_rtc_fwd_len850_factors_10_5_17_wgs_85_tpt_85_dp_op_CI_CI_unitstride_sbrr_C2R_dirReg
    .private_segment_fixed_size: 196
    .sgpr_count:     56
    .sgpr_spill_count: 0
    .symbol:         fft_rtc_fwd_len850_factors_10_5_17_wgs_85_tpt_85_dp_op_CI_CI_unitstride_sbrr_C2R_dirReg.kd
    .uniform_work_group_size: 1
    .uses_dynamic_stack: false
    .vgpr_count:     256
    .vgpr_spill_count: 48
    .wavefront_size: 32
    .workgroup_processor_mode: 1
amdhsa.target:   amdgcn-amd-amdhsa--gfx1100
amdhsa.version:
  - 1
  - 2
...

	.end_amdgpu_metadata
